;; amdgpu-corpus repo=ROCm/rocFFT kind=compiled arch=gfx950 opt=O3
	.text
	.amdgcn_target "amdgcn-amd-amdhsa--gfx950"
	.amdhsa_code_object_version 6
	.protected	fft_rtc_back_len1456_factors_13_4_7_2_2_wgs_182_tpt_182_halfLds_sp_op_CI_CI_unitstride_sbrr_C2R_dirReg ; -- Begin function fft_rtc_back_len1456_factors_13_4_7_2_2_wgs_182_tpt_182_halfLds_sp_op_CI_CI_unitstride_sbrr_C2R_dirReg
	.globl	fft_rtc_back_len1456_factors_13_4_7_2_2_wgs_182_tpt_182_halfLds_sp_op_CI_CI_unitstride_sbrr_C2R_dirReg
	.p2align	8
	.type	fft_rtc_back_len1456_factors_13_4_7_2_2_wgs_182_tpt_182_halfLds_sp_op_CI_CI_unitstride_sbrr_C2R_dirReg,@function
fft_rtc_back_len1456_factors_13_4_7_2_2_wgs_182_tpt_182_halfLds_sp_op_CI_CI_unitstride_sbrr_C2R_dirReg: ; @fft_rtc_back_len1456_factors_13_4_7_2_2_wgs_182_tpt_182_halfLds_sp_op_CI_CI_unitstride_sbrr_C2R_dirReg
; %bb.0:
	s_load_dwordx4 s[4:7], s[0:1], 0x58
	s_load_dwordx4 s[8:11], s[0:1], 0x0
	;; [unrolled: 1-line block ×3, first 2 shown]
	v_mul_u32_u24_e32 v1, 0x169, v0
	v_add_u32_sdwa v6, s2, v1 dst_sel:DWORD dst_unused:UNUSED_PAD src0_sel:DWORD src1_sel:WORD_1
	v_mov_b32_e32 v4, 0
	s_waitcnt lgkmcnt(0)
	v_cmp_lt_u64_e64 s[2:3], s[10:11], 2
	v_mov_b32_e32 v7, v4
	s_and_b64 vcc, exec, s[2:3]
	v_mov_b64_e32 v[2:3], 0
	s_cbranch_vccnz .LBB0_8
; %bb.1:
	s_load_dwordx2 s[2:3], s[0:1], 0x10
	s_add_u32 s16, s14, 8
	s_addc_u32 s17, s15, 0
	s_add_u32 s18, s12, 8
	s_addc_u32 s19, s13, 0
	s_waitcnt lgkmcnt(0)
	s_add_u32 s20, s2, 8
	v_mov_b64_e32 v[2:3], 0
	s_addc_u32 s21, s3, 0
	s_mov_b64 s[22:23], 1
	v_mov_b64_e32 v[34:35], v[2:3]
.LBB0_2:                                ; =>This Inner Loop Header: Depth=1
	s_load_dwordx2 s[24:25], s[20:21], 0x0
                                        ; implicit-def: $vgpr36_vgpr37
	s_waitcnt lgkmcnt(0)
	v_or_b32_e32 v5, s25, v7
	v_cmp_ne_u64_e32 vcc, 0, v[4:5]
	s_and_saveexec_b64 s[2:3], vcc
	s_xor_b64 s[26:27], exec, s[2:3]
	s_cbranch_execz .LBB0_4
; %bb.3:                                ;   in Loop: Header=BB0_2 Depth=1
	v_cvt_f32_u32_e32 v1, s24
	v_cvt_f32_u32_e32 v5, s25
	s_sub_u32 s2, 0, s24
	s_subb_u32 s3, 0, s25
	v_fmac_f32_e32 v1, 0x4f800000, v5
	v_rcp_f32_e32 v1, v1
	s_nop 0
	v_mul_f32_e32 v1, 0x5f7ffffc, v1
	v_mul_f32_e32 v5, 0x2f800000, v1
	v_trunc_f32_e32 v5, v5
	v_fmac_f32_e32 v1, 0xcf800000, v5
	v_cvt_u32_f32_e32 v5, v5
	v_cvt_u32_f32_e32 v1, v1
	v_mul_lo_u32 v8, s2, v5
	v_mul_hi_u32 v10, s2, v1
	v_mul_lo_u32 v9, s3, v1
	v_add_u32_e32 v10, v10, v8
	v_mul_lo_u32 v12, s2, v1
	v_add_u32_e32 v13, v10, v9
	v_mul_hi_u32 v8, v1, v12
	v_mul_hi_u32 v11, v1, v13
	v_mul_lo_u32 v10, v1, v13
	v_mov_b32_e32 v9, v4
	v_lshl_add_u64 v[8:9], v[8:9], 0, v[10:11]
	v_mul_hi_u32 v11, v5, v12
	v_mul_lo_u32 v12, v5, v12
	v_add_co_u32_e32 v8, vcc, v8, v12
	v_mul_hi_u32 v10, v5, v13
	s_nop 0
	v_addc_co_u32_e32 v8, vcc, v9, v11, vcc
	v_mov_b32_e32 v9, v4
	s_nop 0
	v_addc_co_u32_e32 v11, vcc, 0, v10, vcc
	v_mul_lo_u32 v10, v5, v13
	v_lshl_add_u64 v[8:9], v[8:9], 0, v[10:11]
	v_add_co_u32_e32 v1, vcc, v1, v8
	v_mul_lo_u32 v10, s2, v1
	s_nop 0
	v_addc_co_u32_e32 v5, vcc, v5, v9, vcc
	v_mul_lo_u32 v8, s2, v5
	v_mul_hi_u32 v9, s2, v1
	v_add_u32_e32 v8, v9, v8
	v_mul_lo_u32 v9, s3, v1
	v_add_u32_e32 v12, v8, v9
	v_mul_hi_u32 v14, v5, v10
	v_mul_lo_u32 v15, v5, v10
	v_mul_hi_u32 v9, v1, v12
	v_mul_lo_u32 v8, v1, v12
	v_mul_hi_u32 v10, v1, v10
	v_mov_b32_e32 v11, v4
	v_lshl_add_u64 v[8:9], v[10:11], 0, v[8:9]
	v_add_co_u32_e32 v8, vcc, v8, v15
	v_mul_hi_u32 v13, v5, v12
	s_nop 0
	v_addc_co_u32_e32 v8, vcc, v9, v14, vcc
	v_mul_lo_u32 v10, v5, v12
	s_nop 0
	v_addc_co_u32_e32 v11, vcc, 0, v13, vcc
	v_mov_b32_e32 v9, v4
	v_lshl_add_u64 v[8:9], v[8:9], 0, v[10:11]
	v_add_co_u32_e32 v1, vcc, v1, v8
	v_mul_hi_u32 v10, v6, v1
	s_nop 0
	v_addc_co_u32_e32 v5, vcc, v5, v9, vcc
	v_mad_u64_u32 v[8:9], s[2:3], v6, v5, 0
	v_mov_b32_e32 v11, v4
	v_lshl_add_u64 v[8:9], v[10:11], 0, v[8:9]
	v_mad_u64_u32 v[12:13], s[2:3], v7, v1, 0
	v_add_co_u32_e32 v1, vcc, v8, v12
	v_mad_u64_u32 v[10:11], s[2:3], v7, v5, 0
	s_nop 0
	v_addc_co_u32_e32 v8, vcc, v9, v13, vcc
	v_mov_b32_e32 v9, v4
	s_nop 0
	v_addc_co_u32_e32 v11, vcc, 0, v11, vcc
	v_lshl_add_u64 v[8:9], v[8:9], 0, v[10:11]
	v_mul_lo_u32 v1, s25, v8
	v_mul_lo_u32 v5, s24, v9
	v_mad_u64_u32 v[10:11], s[2:3], s24, v8, 0
	v_add3_u32 v1, v11, v5, v1
	v_sub_u32_e32 v5, v7, v1
	v_mov_b32_e32 v11, s25
	v_sub_co_u32_e32 v14, vcc, v6, v10
	v_lshl_add_u64 v[12:13], v[8:9], 0, 1
	s_nop 0
	v_subb_co_u32_e64 v5, s[2:3], v5, v11, vcc
	v_subrev_co_u32_e64 v10, s[2:3], s24, v14
	v_subb_co_u32_e32 v1, vcc, v7, v1, vcc
	s_nop 0
	v_subbrev_co_u32_e64 v5, s[2:3], 0, v5, s[2:3]
	v_cmp_le_u32_e64 s[2:3], s25, v5
	v_cmp_le_u32_e32 vcc, s25, v1
	s_nop 0
	v_cndmask_b32_e64 v11, 0, -1, s[2:3]
	v_cmp_le_u32_e64 s[2:3], s24, v10
	s_nop 1
	v_cndmask_b32_e64 v10, 0, -1, s[2:3]
	v_cmp_eq_u32_e64 s[2:3], s25, v5
	s_nop 1
	v_cndmask_b32_e64 v5, v11, v10, s[2:3]
	v_lshl_add_u64 v[10:11], v[8:9], 0, 2
	v_cmp_ne_u32_e64 s[2:3], 0, v5
	s_nop 1
	v_cndmask_b32_e64 v5, v13, v11, s[2:3]
	v_cndmask_b32_e64 v11, 0, -1, vcc
	v_cmp_le_u32_e32 vcc, s24, v14
	s_nop 1
	v_cndmask_b32_e64 v13, 0, -1, vcc
	v_cmp_eq_u32_e32 vcc, s25, v1
	s_nop 1
	v_cndmask_b32_e32 v1, v11, v13, vcc
	v_cmp_ne_u32_e32 vcc, 0, v1
	v_cndmask_b32_e64 v1, v12, v10, s[2:3]
	s_nop 0
	v_cndmask_b32_e32 v37, v9, v5, vcc
	v_cndmask_b32_e32 v36, v8, v1, vcc
.LBB0_4:                                ;   in Loop: Header=BB0_2 Depth=1
	s_andn2_saveexec_b64 s[2:3], s[26:27]
	s_cbranch_execz .LBB0_6
; %bb.5:                                ;   in Loop: Header=BB0_2 Depth=1
	v_cvt_f32_u32_e32 v1, s24
	s_sub_i32 s26, 0, s24
	v_mov_b32_e32 v37, v4
	v_rcp_iflag_f32_e32 v1, v1
	s_nop 0
	v_mul_f32_e32 v1, 0x4f7ffffe, v1
	v_cvt_u32_f32_e32 v1, v1
	v_mul_lo_u32 v5, s26, v1
	v_mul_hi_u32 v5, v1, v5
	v_add_u32_e32 v1, v1, v5
	v_mul_hi_u32 v1, v6, v1
	v_mul_lo_u32 v5, v1, s24
	v_sub_u32_e32 v5, v6, v5
	v_add_u32_e32 v8, 1, v1
	v_subrev_u32_e32 v9, s24, v5
	v_cmp_le_u32_e32 vcc, s24, v5
	s_nop 1
	v_cndmask_b32_e32 v5, v5, v9, vcc
	v_cndmask_b32_e32 v1, v1, v8, vcc
	v_add_u32_e32 v8, 1, v1
	v_cmp_le_u32_e32 vcc, s24, v5
	s_nop 1
	v_cndmask_b32_e32 v36, v1, v8, vcc
.LBB0_6:                                ;   in Loop: Header=BB0_2 Depth=1
	s_or_b64 exec, exec, s[2:3]
	v_mad_u64_u32 v[8:9], s[2:3], v36, s24, 0
	s_load_dwordx2 s[2:3], s[18:19], 0x0
	v_mul_lo_u32 v1, v37, s24
	v_mul_lo_u32 v5, v36, s25
	s_load_dwordx2 s[24:25], s[16:17], 0x0
	s_add_u32 s22, s22, 1
	v_add3_u32 v1, v9, v5, v1
	v_sub_co_u32_e32 v5, vcc, v6, v8
	s_addc_u32 s23, s23, 0
	s_nop 0
	v_subb_co_u32_e32 v1, vcc, v7, v1, vcc
	s_add_u32 s16, s16, 8
	s_waitcnt lgkmcnt(0)
	v_mul_lo_u32 v6, s2, v1
	v_mul_lo_u32 v7, s3, v5
	v_mad_u64_u32 v[2:3], s[2:3], s2, v5, v[2:3]
	s_addc_u32 s17, s17, 0
	v_add3_u32 v3, v7, v3, v6
	v_mul_lo_u32 v1, s24, v1
	v_mul_lo_u32 v6, s25, v5
	v_mad_u64_u32 v[34:35], s[2:3], s24, v5, v[34:35]
	s_add_u32 s18, s18, 8
	v_add3_u32 v35, v6, v35, v1
	s_addc_u32 s19, s19, 0
	v_mov_b64_e32 v[6:7], s[10:11]
	s_add_u32 s20, s20, 8
	v_cmp_ge_u64_e32 vcc, s[22:23], v[6:7]
	s_addc_u32 s21, s21, 0
	s_cbranch_vccnz .LBB0_9
; %bb.7:                                ;   in Loop: Header=BB0_2 Depth=1
	v_mov_b64_e32 v[6:7], v[36:37]
	s_branch .LBB0_2
.LBB0_8:
	v_mov_b64_e32 v[34:35], v[2:3]
	v_mov_b64_e32 v[36:37], v[6:7]
.LBB0_9:
	s_load_dwordx2 s[2:3], s[0:1], 0x28
	s_lshl_b64 s[16:17], s[10:11], 3
	s_add_u32 s10, s14, s16
	s_addc_u32 s11, s15, s17
                                        ; implicit-def: $vgpr38
                                        ; implicit-def: $vgpr40_vgpr41
	s_waitcnt lgkmcnt(0)
	v_cmp_gt_u64_e64 s[0:1], s[2:3], v[36:37]
	v_cmp_le_u64_e32 vcc, s[2:3], v[36:37]
	s_and_saveexec_b64 s[2:3], vcc
	s_xor_b64 s[2:3], exec, s[2:3]
; %bb.10:
	s_mov_b32 s14, 0x1681682
	v_mul_hi_u32 v1, v0, s14
	v_mul_u32_u24_e32 v1, 0xb6, v1
	v_sub_u32_e32 v38, v0, v1
	v_mov_b32_e32 v39, 0
	v_mov_b64_e32 v[40:41], v[38:39]
                                        ; implicit-def: $vgpr0
                                        ; implicit-def: $vgpr2_vgpr3
; %bb.11:
	s_or_saveexec_b64 s[2:3], s[2:3]
	s_load_dwordx2 s[10:11], s[10:11], 0x0
	s_xor_b64 exec, exec, s[2:3]
	s_cbranch_execz .LBB0_15
; %bb.12:
	s_add_u32 s12, s12, s16
	s_addc_u32 s13, s13, s17
	s_load_dwordx2 s[12:13], s[12:13], 0x0
	s_mov_b32 s14, 0x1681682
	v_mov_b32_e32 v39, 0
	s_waitcnt lgkmcnt(0)
	v_mul_lo_u32 v1, s13, v36
	v_mul_lo_u32 v6, s12, v37
	v_mad_u64_u32 v[4:5], s[12:13], s12, v36, 0
	v_add3_u32 v5, v5, v6, v1
	v_mul_hi_u32 v1, v0, s14
	v_mul_u32_u24_e32 v1, 0xb6, v1
	v_sub_u32_e32 v38, v0, v1
	v_lshl_add_u64 v[0:1], v[4:5], 3, s[4:5]
	v_lshl_add_u64 v[0:1], v[2:3], 3, v[0:1]
	v_lshlrev_b32_e32 v2, 3, v38
	v_mov_b32_e32 v3, v39
	v_lshl_add_u64 v[4:5], v[0:1], 0, v[2:3]
	s_movk_i32 s4, 0x1000
	v_add_co_u32_e32 v6, vcc, s4, v4
	s_movk_i32 s4, 0xb5
	s_nop 0
	v_addc_co_u32_e32 v7, vcc, 0, v5, vcc
	global_load_dwordx2 v[8:9], v[4:5], off
	global_load_dwordx2 v[10:11], v[4:5], off offset:1456
	global_load_dwordx2 v[12:13], v[4:5], off offset:2912
	;; [unrolled: 1-line block ×3, first 2 shown]
	v_add_co_u32_e32 v4, vcc, 0x2000, v4
	v_add_u32_e32 v2, 0, v2
	s_nop 0
	v_addc_co_u32_e32 v5, vcc, 0, v5, vcc
	global_load_dwordx2 v[16:17], v[6:7], off offset:1728
	global_load_dwordx2 v[18:19], v[6:7], off offset:3184
	;; [unrolled: 1-line block ×4, first 2 shown]
	v_cmp_eq_u32_e32 vcc, s4, v38
	v_mov_b64_e32 v[40:41], v[38:39]
	v_add_u32_e32 v3, 0xa00, v2
	v_add_u32_e32 v4, 0x1600, v2
	;; [unrolled: 1-line block ×3, first 2 shown]
	s_waitcnt vmcnt(6)
	ds_write2_b64 v2, v[8:9], v[10:11] offset1:182
	s_waitcnt vmcnt(4)
	ds_write2_b64 v3, v[12:13], v[14:15] offset0:44 offset1:226
	s_waitcnt vmcnt(2)
	ds_write2_b64 v4, v[16:17], v[18:19] offset0:24 offset1:206
	;; [unrolled: 2-line block ×3, first 2 shown]
	s_and_saveexec_b64 s[4:5], vcc
	s_cbranch_execz .LBB0_14
; %bb.13:
	v_add_co_u32_e32 v0, vcc, 0x2000, v0
	v_mov_b32_e32 v38, 0xb5
	s_nop 0
	v_addc_co_u32_e32 v1, vcc, 0, v1, vcc
	global_load_dwordx2 v[0:1], v[0:1], off offset:3456
	v_mov_b64_e32 v[40:41], 0xb5
	s_waitcnt vmcnt(0)
	ds_write_b64 v39, v[0:1] offset:11648
.LBB0_14:
	s_or_b64 exec, exec, s[4:5]
.LBB0_15:
	s_or_b64 exec, exec, s[2:3]
	v_lshlrev_b32_e32 v0, 3, v38
	v_add_u32_e32 v188, 0, v0
	s_waitcnt lgkmcnt(0)
	s_barrier
	v_sub_u32_e32 v2, 0, v0
	ds_read_b32 v1, v188
	ds_read_b32 v3, v2 offset:11648
	s_add_u32 s2, s8, 0x2d18
	s_addc_u32 s3, s9, 0
	v_cmp_ne_u32_e32 vcc, 0, v38
	s_waitcnt lgkmcnt(0)
	v_add_f32_e32 v0, v3, v1
	v_sub_f32_e32 v1, v1, v3
	s_and_saveexec_b64 s[4:5], vcc
	s_xor_b64 s[4:5], exec, s[4:5]
	s_cbranch_execz .LBB0_17
; %bb.16:
	v_lshl_add_u64 v[4:5], v[40:41], 3, s[2:3]
	global_load_dwordx2 v[4:5], v[4:5], off
	ds_read_b32 v3, v2 offset:11652
	ds_read_b32 v9, v188 offset:4
	v_mov_b32_e32 v6, v1
	v_mov_b32_e32 v8, v0
	v_mov_b32_e32 v11, v1
	s_waitcnt lgkmcnt(0)
	v_add_f32_e32 v7, v3, v9
	v_sub_f32_e32 v9, v9, v3
	v_mov_b32_e32 v10, v7
	s_waitcnt vmcnt(0)
	v_pk_mul_f32 v[12:13], v[6:7], v[4:5] op_sel:[0,1]
	v_pk_fma_f32 v[6:7], v[6:7], v[4:5], v[8:9] op_sel:[0,1,0]
	v_mov_b32_e32 v1, v13
	v_mov_b32_e32 v13, v9
	v_pk_fma_f32 v[14:15], v[4:5], v[10:11], v[6:7] neg_lo:[1,0,0] neg_hi:[1,0,0]
	v_pk_fma_f32 v[6:7], v[4:5], v[10:11], v[6:7] op_sel_hi:[0,1,1]
	v_pk_add_f32 v[0:1], v[0:1], v[12:13] neg_lo:[0,1] neg_hi:[0,1]
	v_mov_b32_e32 v15, v7
	v_pk_fma_f32 v[0:1], v[4:5], v[10:11], v[0:1] op_sel_hi:[0,1,1]
	ds_write_b64 v2, v[0:1] offset:11648
	v_mov_b64_e32 v[0:1], v[14:15]
.LBB0_17:
	s_andn2_saveexec_b64 s[4:5], s[4:5]
	s_cbranch_execz .LBB0_19
; %bb.18:
	v_mov_b32_e32 v3, 0
	ds_read_b64 v[4:5], v3 offset:5824
	s_mov_b32 s12, 2.0
	s_mov_b32 s13, -2.0
	s_waitcnt lgkmcnt(0)
	v_pk_mul_f32 v[4:5], v[4:5], s[12:13]
	ds_write_b64 v3, v[4:5] offset:5824
.LBB0_19:
	s_or_b64 exec, exec, s[4:5]
	v_mov_b32_e32 v39, 0
	v_lshl_add_u64 v[4:5], v[38:39], 3, s[2:3]
	global_load_dwordx2 v[6:7], v[4:5], off offset:1456
	global_load_dwordx2 v[8:9], v[4:5], off offset:2912
	s_movk_i32 s2, 0x1000
	v_add_co_u32_e32 v4, vcc, s2, v4
	ds_write_b64 v188, v[0:1]
	s_nop 0
	v_addc_co_u32_e32 v5, vcc, 0, v5, vcc
	global_load_dwordx2 v[4:5], v[4:5], off offset:272
	ds_read_b64 v[0:1], v2 offset:10192
	ds_read_b64 v[10:11], v188 offset:1456
	v_add_u32_e32 v3, 0x400, v188
	v_add_u32_e32 v18, 0xc00, v188
	;; [unrolled: 1-line block ×4, first 2 shown]
	s_waitcnt lgkmcnt(0)
	v_pk_add_f32 v[12:13], v[10:11], v[0:1]
	v_pk_add_f32 v[0:1], v[10:11], v[0:1] neg_lo:[0,1] neg_hi:[0,1]
	v_mov_b32_e32 v10, v13
	v_mov_b32_e32 v11, v0
	;; [unrolled: 1-line block ×3, first 2 shown]
	v_add_u32_e32 v19, 0x2000, v188
	s_mov_b32 s4, 0x3f62ad3f
	s_mov_b32 s40, 0xbf29c268
	;; [unrolled: 1-line block ×54, first 2 shown]
	s_movk_i32 s33, 0x6f
	v_cmp_lt_u32_e32 vcc, s33, v38
	s_waitcnt vmcnt(2)
	v_pk_mul_f32 v[14:15], v[10:11], v[6:7] op_sel:[0,1]
	s_nop 0
	v_pk_add_f32 v[16:17], v[12:13], v[14:15] op_sel:[0,1] op_sel_hi:[1,0]
	v_mov_b32_e32 v13, v14
	v_mov_b32_e32 v0, v15
	v_pk_fma_f32 v[14:15], v[6:7], v[10:11], v[16:17] neg_lo:[1,0,0] neg_hi:[1,0,0]
	v_pk_fma_f32 v[16:17], v[6:7], v[10:11], v[16:17] op_sel_hi:[0,1,1]
	v_pk_add_f32 v[0:1], v[12:13], v[0:1] neg_lo:[0,1] neg_hi:[0,1]
	v_mov_b32_e32 v15, v17
	v_pk_fma_f32 v[0:1], v[6:7], v[10:11], v[0:1] op_sel_hi:[0,1,1]
	ds_write_b64 v188, v[14:15] offset:1456
	ds_write_b64 v2, v[0:1] offset:10192
	ds_read_b64 v[0:1], v2 offset:8736
	ds_read_b64 v[6:7], v188 offset:2912
	s_waitcnt lgkmcnt(0)
	v_pk_add_f32 v[10:11], v[6:7], v[0:1]
	v_pk_add_f32 v[0:1], v[6:7], v[0:1] neg_lo:[0,1] neg_hi:[0,1]
	v_mov_b32_e32 v6, v11
	v_mov_b32_e32 v7, v0
	;; [unrolled: 1-line block ×3, first 2 shown]
	s_waitcnt vmcnt(1)
	v_pk_mul_f32 v[12:13], v[6:7], v[8:9] op_sel:[0,1]
	s_nop 0
	v_pk_add_f32 v[14:15], v[10:11], v[12:13] op_sel:[0,1] op_sel_hi:[1,0]
	v_mov_b32_e32 v11, v12
	v_mov_b32_e32 v0, v13
	v_pk_fma_f32 v[12:13], v[8:9], v[6:7], v[14:15] neg_lo:[1,0,0] neg_hi:[1,0,0]
	v_pk_fma_f32 v[14:15], v[8:9], v[6:7], v[14:15] op_sel_hi:[0,1,1]
	v_pk_add_f32 v[0:1], v[10:11], v[0:1] neg_lo:[0,1] neg_hi:[0,1]
	v_mov_b32_e32 v13, v15
	v_pk_fma_f32 v[0:1], v[8:9], v[6:7], v[0:1] op_sel_hi:[0,1,1]
	ds_write_b64 v188, v[12:13] offset:2912
	ds_write_b64 v2, v[0:1] offset:8736
	ds_read_b64 v[0:1], v2 offset:7280
	ds_read_b64 v[6:7], v188 offset:4368
	s_waitcnt lgkmcnt(0)
	v_pk_add_f32 v[8:9], v[6:7], v[0:1]
	v_pk_add_f32 v[0:1], v[6:7], v[0:1] neg_lo:[0,1] neg_hi:[0,1]
	v_mov_b32_e32 v6, v9
	v_mov_b32_e32 v7, v0
	;; [unrolled: 1-line block ×3, first 2 shown]
	s_waitcnt vmcnt(0)
	v_pk_mul_f32 v[10:11], v[6:7], v[4:5] op_sel:[0,1]
	s_nop 0
	v_pk_add_f32 v[12:13], v[8:9], v[10:11] op_sel:[0,1] op_sel_hi:[1,0]
	v_mov_b32_e32 v9, v10
	v_mov_b32_e32 v0, v11
	v_pk_fma_f32 v[10:11], v[4:5], v[6:7], v[12:13] neg_lo:[1,0,0] neg_hi:[1,0,0]
	v_pk_fma_f32 v[12:13], v[4:5], v[6:7], v[12:13] op_sel_hi:[0,1,1]
	v_pk_add_f32 v[0:1], v[8:9], v[0:1] neg_lo:[0,1] neg_hi:[0,1]
	v_mov_b32_e32 v11, v13
	v_pk_fma_f32 v[0:1], v[4:5], v[6:7], v[0:1] op_sel_hi:[0,1,1]
	ds_write_b64 v188, v[10:11] offset:4368
	ds_write_b64 v2, v[0:1] offset:7280
	s_waitcnt lgkmcnt(0)
	s_barrier
	s_barrier
	ds_read2_b64 v[14:17], v3 offset0:96 offset1:208
	ds_read_b64 v[56:57], v188 offset:10752
	ds_read2_b64 v[10:13], v188 offset1:112
	ds_read2_b64 v[22:25], v18 offset0:64 offset1:176
	ds_read2_b64 v[18:21], v19 offset0:96 offset1:208
	;; [unrolled: 1-line block ×4, first 2 shown]
	s_waitcnt lgkmcnt(4)
	v_pk_add_f32 v[78:79], v[12:13], v[56:57] neg_lo:[0,1] neg_hi:[0,1]
	v_pk_add_f32 v[0:1], v[56:57], v[12:13]
	s_waitcnt lgkmcnt(2)
	v_pk_add_f32 v[82:83], v[14:15], v[20:21] neg_lo:[0,1] neg_hi:[0,1]
	v_pk_add_f32 v[80:81], v[16:17], v[18:19] neg_lo:[0,1] neg_hi:[0,1]
	v_pk_add_f32 v[48:49], v[20:21], v[14:15]
	v_pk_add_f32 v[46:47], v[18:19], v[16:17]
	s_waitcnt lgkmcnt(0)
	v_pk_add_f32 v[86:87], v[22:23], v[32:33] neg_lo:[0,1] neg_hi:[0,1]
	v_pk_add_f32 v[84:85], v[24:25], v[30:31] neg_lo:[0,1] neg_hi:[0,1]
	v_mul_f32_e32 v9, 0xbeedf032, v79
	v_mov_b32_e32 v2, v81
	v_mov_b32_e32 v3, v83
	v_mul_f32_e32 v63, 0xbf6f5d39, v79
	v_mov_b32_e32 v138, v46
	v_mov_b32_e32 v139, v48
	v_fma_f32 v8, v0, s4, -v9
	v_pk_mul_f32 v[58:59], v[2:3], s[16:17]
	v_mov_b32_e32 v6, v85
	v_mov_b32_e32 v7, v87
	v_pk_add_f32 v[52:53], v[32:33], v[22:23]
	v_pk_add_f32 v[50:51], v[30:31], v[24:25]
	v_fma_f32 v70, v0, s13, -v63
	v_pk_mul_f32 v[72:73], v[2:3], s[18:19]
	v_pk_fma_f32 v[2:3], v[138:139], s[14:15], v[58:59] neg_lo:[0,0,1] neg_hi:[0,0,1]
	v_pk_mul_f32 v[66:67], v[6:7], s[40:41]
	v_pk_mul_f32 v[88:89], v[6:7], s[20:21]
	v_add_f32_e32 v7, v10, v8
	v_mov_b32_e32 v144, v50
	v_mov_b32_e32 v145, v52
	v_pk_fma_f32 v[4:5], v[138:139], s[4:5], v[72:73] neg_lo:[0,0,1] neg_hi:[0,0,1]
	v_mov_b32_e32 v130, v79
	v_mov_b32_e32 v131, v1
	v_add_f32_e32 v8, v10, v70
	v_add_f32_e32 v3, v3, v7
	v_pk_fma_f32 v[42:43], v[144:145], s[12:13], v[66:67] neg_lo:[0,0,1] neg_hi:[0,0,1]
	v_pk_mul_f32 v[60:61], v[130:131], s[50:51]
	v_mov_b32_e32 v154, v0
	v_mov_b32_e32 v155, v78
	v_add_f32_e32 v5, v5, v8
	v_add_f32_e32 v7, v2, v3
	v_pk_fma_f32 v[44:45], v[144:145], s[24:25], v[88:89] neg_lo:[0,0,1] neg_hi:[0,0,1]
	v_pk_fma_f32 v[64:65], v[154:155], s[22:23], v[60:61]
	v_pk_fma_f32 v[68:69], v[154:155], s[22:23], v[60:61] neg_lo:[0,0,1] neg_hi:[0,0,1]
	v_mov_b32_e32 v134, v83
	v_mov_b32_e32 v135, v49
	v_add_f32_e32 v8, v4, v5
	v_add_f32_e32 v7, v43, v7
	v_pk_mul_f32 v[104:105], v[130:131], s[38:39]
	s_mov_b32 s38, s14
	s_mov_b32 s39, s16
	v_mov_b32_e32 v69, v65
	v_mov_b32_e32 v160, v48
	v_mov_b32_e32 v161, v82
	v_mov_b32_e32 v140, v81
	v_mov_b32_e32 v141, v47
	v_add_f32_e32 v8, v45, v8
	v_add_f32_e32 v7, v42, v7
	v_pk_fma_f32 v[106:107], v[154:155], s[38:39], v[104:105]
	v_pk_fma_f32 v[42:43], v[154:155], s[38:39], v[104:105] neg_lo:[0,0,1] neg_hi:[0,0,1]
	v_pk_mul_f32 v[110:111], v[134:135], s[54:55]
	v_pk_add_f32 v[74:75], v[10:11], v[68:69]
	v_pk_mul_f32 v[68:69], v[134:135], s[52:53]
	v_mov_b32_e32 v162, v46
	v_mov_b32_e32 v163, v80
	;; [unrolled: 1-line block ×4, first 2 shown]
	v_add_f32_e32 v125, v44, v8
	v_mov_b32_e32 v43, v107
	v_pk_fma_f32 v[108:109], v[160:161], s[28:29], v[110:111]
	v_pk_fma_f32 v[44:45], v[160:161], s[28:29], v[110:111] neg_lo:[0,0,1] neg_hi:[0,0,1]
	v_pk_mul_f32 v[112:113], v[140:141], s[44:45]
	v_pk_fma_f32 v[70:71], v[160:161], s[26:27], v[68:69]
	v_pk_fma_f32 v[76:77], v[160:161], s[26:27], v[68:69] neg_lo:[0,0,1] neg_hi:[0,0,1]
	v_mov_b32_e32 v164, v52
	v_mov_b32_e32 v165, v86
	;; [unrolled: 1-line block ×5, first 2 shown]
	v_pk_fma_f32 v[114:115], v[162:163], s[42:43], v[112:113]
	v_pk_fma_f32 v[126:127], v[162:163], s[42:43], v[112:113] neg_lo:[0,0,1] neg_hi:[0,0,1]
	v_pk_mul_f32 v[118:119], v[146:147], s[56:57]
	v_pk_add_f32 v[42:43], v[10:11], v[42:43]
	v_mov_b32_e32 v77, v71
	v_mov_b32_e32 v168, v50
	v_mov_b32_e32 v169, v84
	v_mov_b32_e32 v127, v115
	v_pk_fma_f32 v[116:117], v[164:165], s[36:37], v[118:119]
	v_pk_fma_f32 v[128:129], v[164:165], s[36:37], v[118:119] neg_lo:[0,0,1] neg_hi:[0,0,1]
	v_pk_mul_f32 v[122:123], v[150:151], s[50:51]
	v_pk_add_f32 v[42:43], v[44:45], v[42:43]
	v_pk_add_f32 v[90:91], v[76:77], v[74:75]
	v_pk_mul_f32 v[74:75], v[140:141], s[54:55]
	v_mov_b32_e32 v129, v117
	v_pk_fma_f32 v[120:121], v[168:169], s[22:23], v[122:123]
	v_pk_fma_f32 v[132:133], v[168:169], s[22:23], v[122:123] neg_lo:[0,0,1] neg_hi:[0,0,1]
	v_pk_add_f32 v[42:43], v[126:127], v[42:43]
	v_pk_fma_f32 v[76:77], v[162:163], s[28:29], v[74:75]
	v_pk_fma_f32 v[2:3], v[162:163], s[28:29], v[74:75] neg_lo:[0,0,1] neg_hi:[0,0,1]
	v_mov_b32_e32 v133, v121
	v_pk_add_f32 v[42:43], v[128:129], v[42:43]
	v_pk_mul_f32 v[166:167], v[0:1], s[48:49] op_sel:[1,0]
	s_mov_b32 s48, s5
	s_mov_b32 s49, s15
	v_mov_b32_e32 v3, v77
	v_pk_add_f32 v[44:45], v[132:133], v[42:43]
	v_pk_fma_f32 v[42:43], v[78:79], s[2:3], v[166:167] op_sel_hi:[0,1,1]
	v_pk_mul_f32 v[172:173], v[48:49], s[48:49] op_sel:[1,0]
	s_mov_b32 s48, s19
	s_mov_b32 s49, s17
	v_pk_add_f32 v[2:3], v[2:3], v[90:91]
	v_pk_mul_f32 v[90:91], v[146:147], s[30:31]
	s_mov_b32 s31, s19
	v_pk_fma_f32 v[132:133], v[82:83], s[48:49], v[172:173] op_sel_hi:[0,1,1]
	v_pk_mul_f32 v[170:171], v[46:47], s[62:63] op_sel:[1,0]
	s_mov_b32 s19, s16
	s_mov_b32 s62, s14
	;; [unrolled: 1-line block ×3, first 2 shown]
	v_pk_add_f32 v[42:43], v[10:11], v[42:43] op_sel:[1,0]
	v_pk_fma_f32 v[136:137], v[80:81], s[18:19], v[170:171] op_sel_hi:[0,1,1]
	v_pk_mul_f32 v[174:175], v[52:53], s[62:63] op_sel:[1,0]
	s_mov_b32 s17, s41
	s_mov_b32 s62, s24
	;; [unrolled: 1-line block ×3, first 2 shown]
	v_pk_add_f32 v[42:43], v[132:133], v[42:43]
	v_pk_add_f32 v[54:55], v[28:29], v[26:27]
	s_mov_b32 s45, s40
	v_pk_fma_f32 v[142:143], v[86:87], s[16:17], v[174:175] op_sel_hi:[0,1,1]
	v_pk_mul_f32 v[178:179], v[50:51], s[62:63] op_sel:[1,0]
	s_mov_b32 s21, s40
	v_pk_add_f32 v[42:43], v[136:137], v[42:43]
	s_mov_b32 s40, s15
	s_mov_b32 s41, s24
	v_pk_add_f32 v[100:101], v[26:27], v[28:29] neg_lo:[0,1] neg_hi:[0,1]
	v_pk_fma_f32 v[148:149], v[84:85], s[20:21], v[178:179] op_sel_hi:[0,1,1]
	v_pk_add_f32 v[42:43], v[142:143], v[42:43]
	v_pk_mul_f32 v[182:183], v[54:55], s[40:41] op_sel:[1,0]
	v_pk_add_f32 v[42:43], v[148:149], v[42:43]
	v_pk_fma_f32 v[132:133], v[100:101], s[46:47], v[182:183] op_sel_hi:[0,1,1]
	s_mov_b32 s44, s5
	v_pk_add_f32 v[42:43], v[132:133], v[42:43]
	v_pk_mul_f32 v[132:133], v[130:131], s[60:61]
	v_pk_mul_f32 v[136:137], v[134:135], s[58:59]
	v_pk_fma_f32 v[158:159], v[154:155], s[44:45], v[132:133] neg_lo:[0,0,1] neg_hi:[0,0,1]
	v_pk_fma_f32 v[130:131], v[154:155], s[44:45], v[132:133]
	v_pk_fma_f32 v[184:185], v[160:161], s[34:35], v[136:137] neg_lo:[0,0,1] neg_hi:[0,0,1]
	v_mov_b32_e32 v159, v131
	v_pk_fma_f32 v[134:135], v[160:161], s[34:35], v[136:137]
	v_pk_mul_f32 v[142:143], v[140:141], s[50:51]
	s_mov_b32 s40, s20
	s_mov_b32 s30, s5
	v_mov_b32_e32 v185, v135
	v_pk_fma_f32 v[186:187], v[162:163], s[22:23], v[142:143] neg_lo:[0,0,1] neg_hi:[0,0,1]
	v_pk_fma_f32 v[140:141], v[162:163], s[22:23], v[142:143]
	v_pk_mul_f32 v[146:147], v[146:147], s[40:41]
	s_mov_b32 s50, s24
	s_mov_b32 s51, s20
	v_pk_add_f32 v[158:159], v[10:11], v[158:159]
	v_pk_fma_f32 v[92:93], v[164:165], s[30:31], v[90:91]
	v_pk_fma_f32 v[4:5], v[164:165], s[30:31], v[90:91] neg_lo:[0,0,1] neg_hi:[0,0,1]
	v_mov_b32_e32 v187, v141
	v_pk_fma_f32 v[190:191], v[164:165], s[50:51], v[146:147] neg_lo:[0,0,1] neg_hi:[0,0,1]
	v_pk_fma_f32 v[148:149], v[164:165], s[50:51], v[146:147]
	v_pk_mul_f32 v[152:153], v[150:151], s[56:57]
	v_pk_add_f32 v[158:159], v[184:185], v[158:159]
	v_mov_b32_e32 v5, v93
	v_pk_mul_f32 v[94:95], v[150:151], s[58:59]
	v_mov_b32_e32 v191, v149
	v_pk_fma_f32 v[192:193], v[168:169], s[36:37], v[152:153] neg_lo:[0,0,1] neg_hi:[0,0,1]
	v_pk_fma_f32 v[150:151], v[168:169], s[36:37], v[152:153]
	v_pk_add_f32 v[158:159], v[186:187], v[158:159]
	v_pk_add_f32 v[2:3], v[4:5], v[2:3]
	v_pk_fma_f32 v[96:97], v[168:169], s[34:35], v[94:95]
	v_pk_fma_f32 v[4:5], v[168:169], s[34:35], v[94:95] neg_lo:[0,0,1] neg_hi:[0,0,1]
	v_mov_b32_e32 v156, v101
	v_mov_b32_e32 v157, v55
	;; [unrolled: 1-line block ×3, first 2 shown]
	v_pk_add_f32 v[158:159], v[190:191], v[158:159]
	v_mov_b32_e32 v5, v97
	v_pk_mul_f32 v[98:99], v[156:157], s[56:57]
	v_mov_b32_e32 v176, v54
	v_mov_b32_e32 v177, v100
	v_pk_mul_f32 v[126:127], v[156:157], s[60:61]
	v_pk_add_f32 v[184:185], v[192:193], v[158:159]
	v_pk_mul_f32 v[158:159], v[156:157], s[52:53]
	v_mul_f32_e32 v62, 0xbe750f2a, v101
	v_pk_add_f32 v[2:3], v[4:5], v[2:3]
	v_pk_fma_f32 v[102:103], v[176:177], s[36:37], v[98:99]
	v_pk_fma_f32 v[4:5], v[176:177], s[36:37], v[98:99] neg_lo:[0,0,1] neg_hi:[0,0,1]
	v_pk_fma_f32 v[128:129], v[176:177], s[44:45], v[126:127]
	v_pk_fma_f32 v[180:181], v[176:177], s[44:45], v[126:127] neg_lo:[0,0,1] neg_hi:[0,0,1]
	v_mul_f32_e32 v124, 0x3f52af12, v101
	v_pk_fma_f32 v[186:187], v[176:177], s[26:27], v[158:159] neg_lo:[0,0,1] neg_hi:[0,0,1]
	v_pk_fma_f32 v[156:157], v[176:177], s[26:27], v[158:159]
	v_fma_f32 v6, v54, s24, -v62
	v_mov_b32_e32 v5, v103
	v_mov_b32_e32 v181, v129
	v_fma_f32 v189, v54, s15, -v124
	v_mov_b32_e32 v187, v157
	s_barrier
	s_and_saveexec_b64 s[40:41], vcc
	s_xor_b64 s[40:41], exec, s[40:41]
; %bb.20:
                                        ; implicit-def: $vgpr56_vgpr57
                                        ; implicit-def: $vgpr0_vgpr1
                                        ; implicit-def: $vgpr78_vgpr79
                                        ; implicit-def: $vgpr9
                                        ; implicit-def: $vgpr63
                                        ; implicit-def: $vgpr48_vgpr49
                                        ; implicit-def: $vgpr82_vgpr83
                                        ; implicit-def: $vgpr46_vgpr47
                                        ; implicit-def: $vgpr80_vgpr81
                                        ; implicit-def: $vgpr58_vgpr59
                                        ; implicit-def: $vgpr72_vgpr73
                                        ; implicit-def: $vgpr52_vgpr53
                                        ; implicit-def: $vgpr86_vgpr87
                                        ; implicit-def: $vgpr50_vgpr51
                                        ; implicit-def: $vgpr84_vgpr85
                                        ; implicit-def: $vgpr66_vgpr67
                                        ; implicit-def: $vgpr88_vgpr89
                                        ; implicit-def: $vgpr54_vgpr55
                                        ; implicit-def: $vgpr100_vgpr101
                                        ; implicit-def: $vgpr62
                                        ; implicit-def: $vgpr10_vgpr11
                                        ; implicit-def: $vgpr60_vgpr61
                                        ; implicit-def: $vgpr64_vgpr65
                                        ; implicit-def: $vgpr68_vgpr69
                                        ; implicit-def: $vgpr70_vgpr71
                                        ; implicit-def: $vgpr74_vgpr75
                                        ; implicit-def: $vgpr76_vgpr77
                                        ; implicit-def: $vgpr90_vgpr91
                                        ; implicit-def: $vgpr92_vgpr93
                                        ; implicit-def: $vgpr94_vgpr95
                                        ; implicit-def: $vgpr96_vgpr97
                                        ; implicit-def: $vgpr98_vgpr99
                                        ; implicit-def: $vgpr102_vgpr103
                                        ; implicit-def: $vgpr104_vgpr105
                                        ; implicit-def: $vgpr106_vgpr107
                                        ; implicit-def: $vgpr110_vgpr111
                                        ; implicit-def: $vgpr108_vgpr109
                                        ; implicit-def: $vgpr112_vgpr113
                                        ; implicit-def: $vgpr114_vgpr115
                                        ; implicit-def: $vgpr118_vgpr119
                                        ; implicit-def: $vgpr116_vgpr117
                                        ; implicit-def: $vgpr122_vgpr123
                                        ; implicit-def: $vgpr120_vgpr121
                                        ; implicit-def: $vgpr126_vgpr127
                                        ; implicit-def: $vgpr128_vgpr129
                                        ; implicit-def: $vgpr124
                                        ; implicit-def: $vgpr166_vgpr167
                                        ; implicit-def: $vgpr172_vgpr173
                                        ; implicit-def: $vgpr170_vgpr171
                                        ; implicit-def: $vgpr174_vgpr175
                                        ; implicit-def: $vgpr178_vgpr179
                                        ; implicit-def: $vgpr182_vgpr183
                                        ; implicit-def: $vgpr132_vgpr133
                                        ; implicit-def: $vgpr130_vgpr131
                                        ; implicit-def: $vgpr136_vgpr137
                                        ; implicit-def: $vgpr134_vgpr135
                                        ; implicit-def: $vgpr142_vgpr143
                                        ; implicit-def: $vgpr140_vgpr141
                                        ; implicit-def: $vgpr146_vgpr147
                                        ; implicit-def: $vgpr148_vgpr149
                                        ; implicit-def: $vgpr152_vgpr153
                                        ; implicit-def: $vgpr150_vgpr151
                                        ; implicit-def: $vgpr158_vgpr159
                                        ; implicit-def: $vgpr156_vgpr157
                                        ; implicit-def: $vgpr176_vgpr177
                                        ; implicit-def: $vgpr168_vgpr169
                                        ; implicit-def: $vgpr164_vgpr165
                                        ; implicit-def: $vgpr162_vgpr163
                                        ; implicit-def: $vgpr160_vgpr161
                                        ; implicit-def: $vgpr154_vgpr155
                                        ; implicit-def: $vgpr144_vgpr145
                                        ; implicit-def: $vgpr138_vgpr139
                                        ; implicit-def: $vgpr14_vgpr15_vgpr16_vgpr17
                                        ; implicit-def: $vgpr22_vgpr23_vgpr24_vgpr25
                                        ; implicit-def: $vgpr26_vgpr27_vgpr28_vgpr29
                                        ; implicit-def: $vgpr30_vgpr31_vgpr32_vgpr33
                                        ; implicit-def: $vgpr18_vgpr19_vgpr20_vgpr21
; %bb.21:
	s_or_saveexec_b64 s[40:41], s[40:41]
	v_add_f32_e32 v8, v6, v7
	v_pk_add_f32 v[6:7], v[4:5], v[2:3]
	v_pk_add_f32 v[4:5], v[180:181], v[44:45]
	v_add_f32_e32 v44, v189, v125
	v_pk_add_f32 v[2:3], v[186:187], v[184:185]
	s_xor_b64 exec, exec, s[40:41]
	s_cbranch_execz .LBB0_23
; %bb.22:
	v_pk_mul_f32 v[216:217], v[78:79], s[2:3] op_sel_hi:[0,1]
	v_pk_mul_f32 v[218:219], v[82:83], s[48:49] op_sel_hi:[0,1]
	v_mov_b32_e32 v228, v172
	v_mov_b32_e32 v229, v166
	;; [unrolled: 1-line block ×4, first 2 shown]
	v_pk_add_f32 v[228:229], v[228:229], v[230:231] neg_lo:[0,1] neg_hi:[0,1]
	v_pk_mul_f32 v[220:221], v[80:81], s[18:19] op_sel_hi:[0,1]
	v_pk_mul_f32 v[222:223], v[86:87], s[16:17] op_sel_hi:[0,1]
	v_pk_add_f32 v[230:231], v[10:11], v[228:229]
	v_mul_f32_e32 v65, 0xbeb58ec6, v0
	v_mov_b32_e32 v166, v231
	v_mov_b32_e32 v230, v174
	;; [unrolled: 1-line block ×5, first 2 shown]
	v_pk_mul_f32 v[180:181], v[138:139], s[14:15]
	v_pk_mul_f32 v[138:139], v[138:139], s[4:5]
	v_pk_add_f32 v[230:231], v[230:231], v[232:233] neg_lo:[0,1] neg_hi:[0,1]
	v_add_f32_e32 v63, v65, v63
	v_pk_add_f32 v[228:229], v[228:229], v[166:167]
	v_mov_b32_e32 v166, v231
	v_add_f32_e32 v63, v10, v63
	v_pk_add_f32 v[72:73], v[138:139], v[72:73]
	v_pk_add_f32 v[12:13], v[10:11], v[12:13]
	v_pk_mul_f32 v[184:185], v[144:145], s[12:13]
	v_pk_mul_f32 v[144:145], v[144:145], s[24:25]
	v_pk_add_f32 v[228:229], v[166:167], v[228:229]
	v_add_f32_e32 v63, v73, v63
	v_mov_b32_e32 v166, v173
	v_mov_b32_e32 v216, v219
	v_pk_add_f32 v[12:13], v[12:13], v[14:15]
	v_add_f32_e32 v63, v72, v63
	v_pk_add_f32 v[72:73], v[144:145], v[88:89]
	v_pk_add_f32 v[88:89], v[166:167], v[216:217] neg_lo:[0,1] neg_hi:[0,1]
	v_pk_add_f32 v[12:13], v[12:13], v[16:17]
	v_pk_add_f32 v[138:139], v[10:11], v[88:89]
	;; [unrolled: 1-line block ×3, first 2 shown]
	v_mul_f32_e32 v45, 0x3f62ad3f, v0
	v_mov_b32_e32 v138, v139
	v_mov_b32_e32 v170, v175
	;; [unrolled: 1-line block ×3, first 2 shown]
	v_pk_add_f32 v[12:13], v[12:13], v[24:25]
	v_pk_add_f32 v[88:89], v[88:89], v[138:139]
	v_pk_add_f32 v[138:139], v[170:171], v[220:221] neg_lo:[0,1] neg_hi:[0,1]
	v_add_f32_e32 v9, v45, v9
	v_pk_add_f32 v[12:13], v[12:13], v[26:27]
	v_mov_b32_e32 v144, v139
	v_add_f32_e32 v9, v10, v9
	v_pk_add_f32 v[58:59], v[180:181], v[58:59]
	v_pk_add_f32 v[12:13], v[12:13], v[28:29]
	v_pk_mul_f32 v[224:225], v[84:85], s[20:21] op_sel_hi:[0,1]
	v_pk_add_f32 v[88:89], v[144:145], v[88:89]
	v_add_f32_e32 v9, v59, v9
	v_pk_add_f32 v[12:13], v[12:13], v[30:31]
	v_pk_mul_f32 v[226:227], v[100:101], s[46:47] op_sel_hi:[0,1]
	v_pk_add_f32 v[178:179], v[178:179], v[224:225] neg_lo:[0,1] neg_hi:[0,1]
	v_add_f32_e32 v63, v73, v63
	v_pk_add_f32 v[88:89], v[138:139], v[88:89]
	v_add_f32_e32 v9, v58, v9
	v_pk_add_f32 v[58:59], v[184:185], v[66:67]
	v_pk_add_f32 v[12:13], v[12:13], v[32:33]
	v_mul_f32_e32 v186, 0xbf788fa5, v54
	s_mov_b32 s2, 0xbe750f2a
	v_pk_add_f32 v[182:183], v[182:183], v[226:227] neg_lo:[0,1] neg_hi:[0,1]
	v_add_f32_e32 v72, v72, v63
	v_add_f32_e32 v9, v59, v9
	v_pk_add_f32 v[12:13], v[12:13], v[18:19]
	v_mov_b32_e32 v187, v179
	v_mov_b32_e32 v63, v88
	v_pk_mul_f32 v[78:79], v[78:79], s[2:3] op_sel_hi:[1,0]
	v_add_f32_e32 v58, v58, v9
	s_movk_i32 s3, 0x60
	v_pk_add_f32 v[12:13], v[12:13], v[20:21]
	v_pk_add_f32 v[14:15], v[186:187], v[62:63]
	v_mov_b32_e32 v59, v183
	v_pk_mul_f32 v[192:193], v[160:161], s[26:27]
	v_mad_u32_u24 v9, v38, s3, v188
	v_pk_add_f32 v[12:13], v[12:13], v[56:57]
	v_pk_add_f32 v[14:15], v[14:15], v[58:59]
	v_pk_mul_f32 v[194:195], v[162:163], s[28:29]
	ds_write2_b64 v9, v[12:13], v[14:15] offset1:1
	v_pk_add_f32 v[14:15], v[68:69], v[192:193] neg_lo:[0,1] neg_hi:[0,1]
	v_pk_mul_f32 v[196:197], v[164:165], s[30:31]
	v_mov_b32_e32 v71, v15
	v_pk_add_f32 v[14:15], v[74:75], v[194:195] neg_lo:[0,1] neg_hi:[0,1]
	v_pk_mul_f32 v[198:199], v[168:169], s[34:35]
	v_mov_b32_e32 v77, v15
	;; [unrolled: 3-line block ×3, first 2 shown]
	v_pk_add_f32 v[14:15], v[94:95], v[198:199] neg_lo:[0,1] neg_hi:[0,1]
	v_pk_mul_f32 v[190:191], v[154:155], s[22:23]
	v_pk_mul_f32 v[202:203], v[154:155], s[38:39]
	v_mov_b32_e32 v97, v15
	v_pk_add_f32 v[14:15], v[98:99], v[200:201] neg_lo:[0,1] neg_hi:[0,1]
	v_pk_mul_f32 v[204:205], v[160:161], s[28:29]
	v_pk_add_f32 v[12:13], v[60:61], v[190:191] neg_lo:[0,1] neg_hi:[0,1]
	v_mov_b32_e32 v103, v15
	v_pk_add_f32 v[14:15], v[104:105], v[202:203] neg_lo:[0,1] neg_hi:[0,1]
	v_pk_mul_f32 v[206:207], v[162:163], s[42:43]
	v_mov_b32_e32 v65, v13
	v_mov_b32_e32 v107, v15
	v_pk_add_f32 v[16:17], v[110:111], v[204:205] neg_lo:[0,1] neg_hi:[0,1]
	v_pk_mul_f32 v[208:209], v[164:165], s[36:37]
	v_pk_add_f32 v[12:13], v[10:11], v[64:65]
	v_pk_add_f32 v[14:15], v[10:11], v[106:107]
	v_mov_b32_e32 v109, v17
	v_pk_add_f32 v[16:17], v[112:113], v[206:207] neg_lo:[0,1] neg_hi:[0,1]
	v_pk_mul_f32 v[210:211], v[168:169], s[22:23]
	v_pk_add_f32 v[12:13], v[70:71], v[12:13]
	v_pk_add_f32 v[14:15], v[108:109], v[14:15]
	;; [unrolled: 5-line block ×3, first 2 shown]
	v_mov_b32_e32 v117, v17
	v_pk_add_f32 v[16:17], v[122:123], v[210:211] neg_lo:[0,1] neg_hi:[0,1]
	v_pk_add_f32 v[12:13], v[92:93], v[12:13]
	v_pk_add_f32 v[14:15], v[116:117], v[14:15]
	v_mov_b32_e32 v121, v17
	v_pk_add_f32 v[16:17], v[126:127], v[212:213] neg_lo:[0,1] neg_hi:[0,1]
	v_pk_add_f32 v[12:13], v[96:97], v[12:13]
	v_pk_add_f32 v[14:15], v[120:121], v[14:15]
	v_mov_b32_e32 v129, v17
	v_pk_mul_f32 v[154:155], v[154:155], s[44:45]
	v_pk_add_f32 v[12:13], v[102:103], v[12:13]
	v_pk_add_f32 v[14:15], v[128:129], v[14:15]
	v_pk_mul_f32 v[160:161], v[160:161], s[34:35]
	ds_write2_b64 v9, v[12:13], v[14:15] offset0:2 offset1:3
	v_pk_add_f32 v[14:15], v[132:133], v[154:155] neg_lo:[0,1] neg_hi:[0,1]
	v_pk_mul_f32 v[162:163], v[162:163], s[22:23]
	v_mov_b32_e32 v131, v15
	v_pk_add_f32 v[16:17], v[136:137], v[160:161] neg_lo:[0,1] neg_hi:[0,1]
	v_pk_mul_f32 v[164:165], v[164:165], s[50:51]
	v_pk_add_f32 v[14:15], v[10:11], v[130:131]
	v_mov_b32_e32 v135, v17
	v_pk_add_f32 v[16:17], v[142:143], v[162:163] neg_lo:[0,1] neg_hi:[0,1]
	v_pk_mul_f32 v[168:169], v[168:169], s[36:37]
	v_pk_add_f32 v[14:15], v[134:135], v[14:15]
	;; [unrolled: 4-line block ×3, first 2 shown]
	v_pk_add_f32 v[14:15], v[140:141], v[14:15]
	v_mov_b32_e32 v149, v17
	v_pk_add_f32 v[16:17], v[152:153], v[168:169] neg_lo:[0,1] neg_hi:[0,1]
	v_mul_f32_e32 v214, 0x3f116cb1, v54
	v_mov_b32_e32 v215, v178
	v_mov_b32_e32 v125, v228
	v_pk_add_f32 v[14:15], v[148:149], v[14:15]
	v_mov_b32_e32 v151, v17
	v_pk_add_f32 v[16:17], v[158:159], v[176:177] neg_lo:[0,1] neg_hi:[0,1]
	v_pk_add_f32 v[12:13], v[214:215], v[124:125]
	v_mov_b32_e32 v73, v182
	v_pk_add_f32 v[14:15], v[150:151], v[14:15]
	v_mov_b32_e32 v157, v17
	s_mov_b32 s2, 0xbf788fa5
	s_mov_b32 s4, 0x3eedf032
	v_pk_add_f32 v[12:13], v[12:13], v[72:73]
	v_pk_add_f32 v[14:15], v[156:157], v[14:15]
	v_pk_mul_f32 v[82:83], v[82:83], s[4:5] op_sel_hi:[1,0]
	s_mov_b32 s4, 0x3f62ad3f
	ds_write2_b64 v9, v[12:13], v[14:15] offset0:4 offset1:5
	v_pk_fma_f32 v[12:13], v[0:1], s[2:3], v[78:79] op_sel:[0,0,1] op_sel_hi:[1,0,0]
	v_pk_fma_f32 v[0:1], v[0:1], s[2:3], v[78:79] op_sel:[0,0,1] op_sel_hi:[1,0,0] neg_lo:[0,0,1] neg_hi:[0,0,1]
	s_mov_b32 s12, 0xbf29c268
	v_mov_b32_e32 v14, v12
	v_mov_b32_e32 v15, v1
	v_pk_fma_f32 v[16:17], v[48:49], s[4:5], v[82:83] op_sel:[0,0,1] op_sel_hi:[1,0,0]
	v_pk_fma_f32 v[18:19], v[48:49], s[4:5], v[82:83] op_sel:[0,0,1] op_sel_hi:[1,0,0] neg_lo:[0,0,1] neg_hi:[0,0,1]
	v_pk_mul_f32 v[80:81], v[80:81], s[12:13] op_sel_hi:[1,0]
	s_mov_b32 s12, 0xbf3f9e67
	v_pk_add_f32 v[14:15], v[10:11], v[14:15]
	v_mov_b32_e32 v20, v16
	v_mov_b32_e32 v21, v19
	s_mov_b32 s14, 0x3f52af12
	v_pk_add_f32 v[14:15], v[20:21], v[14:15]
	v_pk_fma_f32 v[20:21], v[46:47], s[12:13], v[80:81] op_sel:[0,0,1] op_sel_hi:[1,0,0]
	v_pk_fma_f32 v[22:23], v[46:47], s[12:13], v[80:81] op_sel:[0,0,1] op_sel_hi:[1,0,0] neg_lo:[0,0,1] neg_hi:[0,0,1]
	v_pk_mul_f32 v[86:87], v[86:87], s[14:15] op_sel_hi:[1,0]
	s_mov_b32 s14, 0x3f116cb1
	v_mov_b32_e32 v24, v20
	v_mov_b32_e32 v25, v23
	s_mov_b32 s16, 0xbf6f5d39
	v_pk_add_f32 v[14:15], v[24:25], v[14:15]
	v_pk_fma_f32 v[24:25], v[52:53], s[14:15], v[86:87] op_sel:[0,0,1] op_sel_hi:[1,0,0]
	v_pk_fma_f32 v[26:27], v[52:53], s[14:15], v[86:87] op_sel:[0,0,1] op_sel_hi:[1,0,0] neg_lo:[0,0,1] neg_hi:[0,0,1]
	v_mov_b32_e32 v1, v13
	v_pk_mul_f32 v[84:85], v[84:85], s[16:17] op_sel_hi:[1,0]
	s_mov_b32 s16, 0xbeb58ec6
	v_mov_b32_e32 v28, v24
	v_mov_b32_e32 v29, v27
	v_pk_add_f32 v[0:1], v[10:11], v[0:1]
	v_mov_b32_e32 v19, v17
	s_mov_b32 s18, 0x3f7e222b
	v_pk_add_f32 v[14:15], v[28:29], v[14:15]
	v_pk_fma_f32 v[28:29], v[50:51], s[16:17], v[84:85] op_sel:[0,0,1] op_sel_hi:[1,0,0]
	v_pk_fma_f32 v[30:31], v[50:51], s[16:17], v[84:85] op_sel:[0,0,1] op_sel_hi:[1,0,0] neg_lo:[0,0,1] neg_hi:[0,0,1]
	v_pk_add_f32 v[0:1], v[18:19], v[0:1]
	v_mov_b32_e32 v23, v21
	v_pk_mul_f32 v[100:101], v[100:101], s[18:19] op_sel_hi:[1,0]
	s_mov_b32 s18, 0x3df6dbef
	v_mov_b32_e32 v32, v28
	v_mov_b32_e32 v33, v31
	v_pk_add_f32 v[0:1], v[22:23], v[0:1]
	v_mov_b32_e32 v27, v25
	v_pk_add_f32 v[14:15], v[32:33], v[14:15]
	v_pk_fma_f32 v[32:33], v[54:55], s[18:19], v[100:101] op_sel:[0,0,1] op_sel_hi:[1,0,0]
	v_pk_fma_f32 v[46:47], v[54:55], s[18:19], v[100:101] op_sel:[0,0,1] op_sel_hi:[1,0,0] neg_lo:[0,0,1] neg_hi:[0,0,1]
	v_pk_add_f32 v[0:1], v[26:27], v[0:1]
	v_mov_b32_e32 v31, v29
	v_mov_b32_e32 v48, v32
	;; [unrolled: 1-line block ×3, first 2 shown]
	v_pk_add_f32 v[0:1], v[30:31], v[0:1]
	v_mov_b32_e32 v47, v33
	v_pk_add_f32 v[14:15], v[48:49], v[14:15]
	v_pk_add_f32 v[0:1], v[46:47], v[0:1]
	ds_write2_b64 v9, v[14:15], v[0:1] offset0:6 offset1:7
	ds_write_b64 v9, v[2:3] offset:64
	ds_write2_b32 v9, v42, v4 offset0:19 offset1:20
	v_mov_b32_e32 v1, v6
	ds_write2_b32 v9, v5, v6 offset0:21 offset1:22
	v_mov_b32_e32 v0, v7
	ds_write2_b32 v9, v7, v8 offset0:23 offset1:24
	ds_write2_b32 v9, v44, v43 offset0:18 offset1:25
.LBB0_23:
	s_or_b64 exec, exec, s[40:41]
	s_movk_i32 s2, 0x4f
	v_mul_lo_u16_sdwa v0, v38, s2 dst_sel:DWORD dst_unused:UNUSED_PAD src0_sel:BYTE_0 src1_sel:DWORD
	v_lshrrev_b16_e32 v9, 10, v0
	v_add_u32_e32 v26, 0xb6, v38
	v_mul_lo_u16_e32 v0, 13, v9
	s_movk_i32 s2, 0x4ec5
	v_sub_u16_e32 v27, v38, v0
	v_mul_u32_u24_sdwa v0, v26, s2 dst_sel:DWORD dst_unused:UNUSED_PAD src0_sel:WORD_0 src1_sel:DWORD
	v_lshrrev_b32_e32 v50, 18, v0
	v_mul_lo_u16_e32 v0, 13, v50
	v_sub_u16_e32 v51, v26, v0
	v_mul_u32_u24_e32 v0, 3, v51
	v_mov_b32_e32 v45, 3
	v_lshlrev_b32_e32 v14, 3, v0
	s_waitcnt lgkmcnt(0)
	s_barrier
	global_load_dwordx2 v[0:1], v14, s[8:9] offset:16
	global_load_dwordx4 v[10:13], v14, s[8:9]
	v_mul_u32_u24_sdwa v14, v27, v45 dst_sel:DWORD dst_unused:UNUSED_PAD src0_sel:BYTE_0 src1_sel:DWORD
	v_lshlrev_b32_e32 v18, 3, v14
	global_load_dwordx4 v[14:17], v18, s[8:9]
	global_load_dwordx2 v[32:33], v18, s[8:9] offset:16
	v_add_u32_e32 v22, 0xa00, v188
	v_add_u32_e32 v28, 0x1600, v188
	;; [unrolled: 1-line block ×3, first 2 shown]
	ds_read2_b64 v[18:21], v188 offset1:182
	ds_read2_b64 v[22:25], v22 offset0:44 offset1:226
	ds_read2_b64 v[28:31], v28 offset0:24 offset1:206
	;; [unrolled: 1-line block ×3, first 2 shown]
	v_mul_u32_u24_e32 v9, 0x1a0, v9
	v_mul_u32_u24_e32 v54, 0x1a0, v50
	v_lshlrev_b32_sdwa v27, v45, v27 dst_sel:DWORD dst_unused:UNUSED_PAD src0_sel:DWORD src1_sel:BYTE_0
	v_lshlrev_b32_e32 v45, 3, v51
	v_add_u32_e32 v53, 0xc00, v188
	s_waitcnt lgkmcnt(2)
	v_mov_b32_e32 v50, v25
	s_waitcnt lgkmcnt(0)
	v_mov_b32_e32 v52, v49
	v_add3_u32 v9, 0, v9, v27
	v_add3_u32 v27, 0, v54, v45
	s_barrier
	v_cmp_gt_u32_e32 vcc, 26, v38
	v_cmp_lt_u32_e64 s[2:3], 25, v38
	s_waitcnt vmcnt(3)
	v_pk_mul_f32 v[58:59], v[0:1], v[48:49] op_sel_hi:[1,0]
	s_waitcnt vmcnt(2)
	v_pk_mul_f32 v[54:55], v[10:11], v[24:25] op_sel_hi:[1,0]
	v_pk_mul_f32 v[56:57], v[12:13], v[30:31] op_sel:[0,1]
	s_waitcnt vmcnt(1)
	v_pk_mul_f32 v[60:61], v[14:15], v[22:23] op_sel:[0,1]
	v_pk_mul_f32 v[62:63], v[16:17], v[28:29] op_sel:[0,1]
	s_waitcnt vmcnt(0)
	v_pk_mul_f32 v[64:65], v[32:33], v[46:47] op_sel:[0,1]
	v_pk_fma_f32 v[50:51], v[10:11], v[50:51], v[54:55] op_sel:[0,0,1] op_sel_hi:[1,1,0] neg_lo:[0,0,1] neg_hi:[0,0,1]
	v_pk_fma_f32 v[10:11], v[10:11], v[24:25], v[54:55] op_sel:[0,1,1] op_sel_hi:[1,1,0]
	v_pk_fma_f32 v[24:25], v[12:13], v[30:31], v[56:57] op_sel:[0,0,1] op_sel_hi:[1,1,0]
	v_pk_fma_f32 v[12:13], v[12:13], v[30:31], v[56:57] op_sel:[0,0,1] op_sel_hi:[1,0,0] neg_lo:[1,0,0] neg_hi:[1,0,0]
	v_pk_fma_f32 v[30:31], v[0:1], v[52:53], v[58:59] op_sel:[0,0,1] op_sel_hi:[1,1,0] neg_lo:[0,0,1] neg_hi:[0,0,1]
	v_pk_fma_f32 v[0:1], v[0:1], v[48:49], v[58:59] op_sel:[0,1,1] op_sel_hi:[1,1,0]
	v_pk_fma_f32 v[48:49], v[14:15], v[22:23], v[60:61] op_sel:[0,0,1] op_sel_hi:[1,1,0]
	v_pk_fma_f32 v[14:15], v[14:15], v[22:23], v[60:61] op_sel:[0,0,1] op_sel_hi:[1,0,0] neg_lo:[1,0,0] neg_hi:[1,0,0]
	v_pk_fma_f32 v[22:23], v[16:17], v[28:29], v[62:63] op_sel:[0,0,1] op_sel_hi:[1,1,0]
	v_pk_fma_f32 v[16:17], v[16:17], v[28:29], v[62:63] op_sel:[0,0,1] op_sel_hi:[1,0,0] neg_lo:[1,0,0] neg_hi:[1,0,0]
	v_pk_fma_f32 v[28:29], v[32:33], v[46:47], v[64:65] op_sel:[0,0,1] op_sel_hi:[1,1,0]
	v_pk_fma_f32 v[32:33], v[32:33], v[46:47], v[64:65] op_sel:[0,0,1] op_sel_hi:[1,0,0] neg_lo:[1,0,0] neg_hi:[1,0,0]
	v_mov_b32_e32 v51, v11
	v_mov_b32_e32 v25, v13
	;; [unrolled: 1-line block ×6, first 2 shown]
	v_pk_add_f32 v[10:11], v[20:21], v[24:25] neg_lo:[0,1] neg_hi:[0,1]
	v_pk_add_f32 v[12:13], v[50:51], v[30:31] neg_lo:[0,1] neg_hi:[0,1]
	;; [unrolled: 1-line block ×4, first 2 shown]
	v_pk_add_f32 v[0:1], v[10:11], v[12:13]
	v_pk_add_f32 v[22:23], v[10:11], v[12:13] neg_lo:[0,1] neg_hi:[0,1]
	v_pk_fma_f32 v[18:19], v[18:19], 2.0, v[14:15] op_sel_hi:[1,0,1] neg_lo:[0,0,1] neg_hi:[0,0,1]
	v_pk_fma_f32 v[24:25], v[48:49], 2.0, v[16:17] op_sel_hi:[1,0,1] neg_lo:[0,0,1] neg_hi:[0,0,1]
	v_pk_add_f32 v[28:29], v[14:15], v[16:17] op_sel:[0,1] op_sel_hi:[1,0]
	v_pk_add_f32 v[16:17], v[14:15], v[16:17] op_sel:[0,1] op_sel_hi:[1,0] neg_lo:[0,1] neg_hi:[0,1]
	v_pk_fma_f32 v[20:21], v[20:21], 2.0, v[10:11] op_sel_hi:[1,0,1] neg_lo:[0,0,1] neg_hi:[0,0,1]
	v_pk_fma_f32 v[12:13], v[50:51], 2.0, v[12:13] op_sel_hi:[1,0,1] neg_lo:[0,0,1] neg_hi:[0,0,1]
	v_mov_b32_e32 v1, v23
	v_pk_add_f32 v[22:23], v[18:19], v[24:25] neg_lo:[0,1] neg_hi:[0,1]
	v_mov_b32_e32 v29, v17
	v_pk_add_f32 v[12:13], v[20:21], v[12:13] op_sel:[0,1] op_sel_hi:[1,0] neg_lo:[0,1] neg_hi:[0,1]
	v_pk_fma_f32 v[18:19], v[18:19], 2.0, v[22:23] op_sel_hi:[1,0,1] neg_lo:[0,0,1] neg_hi:[0,0,1]
	v_pk_fma_f32 v[14:15], v[14:15], 2.0, v[28:29] op_sel_hi:[1,0,1] neg_lo:[0,0,1] neg_hi:[0,0,1]
	;; [unrolled: 1-line block ×3, first 2 shown]
	ds_write2_b64 v9, v[22:23], v[28:29] offset0:26 offset1:39
	v_pk_fma_f32 v[10:11], v[10:11], 2.0, v[0:1] op_sel_hi:[1,0,1] neg_lo:[0,0,1] neg_hi:[0,0,1]
	ds_write2_b64 v9, v[18:19], v[14:15] offset1:13
	ds_write2_b64 v27, v[16:17], v[10:11] offset1:13
	ds_write2_b64 v27, v[12:13], v[0:1] offset0:26 offset1:39
	v_add_u32_e32 v9, 0x1a00, v188
	s_waitcnt lgkmcnt(0)
	s_barrier
	ds_read2_b64 v[12:15], v188 offset1:208
	ds_read2_b64 v[16:19], v53 offset0:32 offset1:240
	ds_read2_b64 v[20:23], v9 offset1:208
	ds_read_b64 v[24:25], v188 offset:9984
	s_and_saveexec_b64 s[4:5], s[2:3]
	s_xor_b64 s[2:3], exec, s[4:5]
	s_andn2_saveexec_b64 s[2:3], s[2:3]
	s_cbranch_execz .LBB0_25
; %bb.24:
	v_add_u32_e32 v4, 0x1000, v188
	v_add_u32_e32 v0, 0x500, v188
	ds_read2_b32 v[44:45], v4 offset0:172 offset1:173
	v_add_u32_e32 v4, 0x1800, v188
	v_add_u32_e32 v5, 0x2600, v188
	ds_read2_b64 v[0:3], v0 offset0:22 offset1:230
	ds_read2_b64 v[8:11], v5 offset0:6 offset1:214
	;; [unrolled: 1-line block ×3, first 2 shown]
	s_waitcnt lgkmcnt(3)
	v_mov_b32_e32 v42, v45
	s_waitcnt lgkmcnt(1)
	v_mov_b32_e32 v43, v9
.LBB0_25:
	s_or_b64 exec, exec, s[2:3]
	s_movk_i32 s2, 0x4f
	v_mul_lo_u16_sdwa v9, v38, s2 dst_sel:DWORD dst_unused:UNUSED_PAD src0_sel:BYTE_0 src1_sel:DWORD
	v_lshrrev_b16_e32 v9, 12, v9
	v_mul_lo_u16_e32 v27, 52, v9
	v_sub_u16_e32 v27, v38, v27
	v_mov_b32_e32 v28, 6
	v_mul_u32_u24_sdwa v28, v27, v28 dst_sel:DWORD dst_unused:UNUSED_PAD src0_sel:BYTE_0 src1_sel:DWORD
	v_lshlrev_b32_e32 v32, 3, v28
	global_load_dwordx4 v[28:31], v32, s[8:9] offset:328
	global_load_dwordx4 v[46:49], v32, s[8:9] offset:312
	;; [unrolled: 1-line block ×3, first 2 shown]
	s_waitcnt lgkmcnt(2)
	v_mov_b32_e32 v32, v19
	v_mov_b32_e32 v33, v18
	s_waitcnt lgkmcnt(1)
	v_mov_b32_e32 v54, v21
	v_mov_b32_e32 v55, v20
	;; [unrolled: 1-line block ×6, first 2 shown]
	s_waitcnt lgkmcnt(0)
	v_mov_b32_e32 v62, v25
	v_mul_u32_u24_e32 v9, 0xb60, v9
	v_lshlrev_b32_sdwa v19, v19, v27 dst_sel:DWORD dst_unused:UNUSED_PAD src0_sel:DWORD src1_sel:BYTE_0
	v_add3_u32 v9, 0, v9, v19
	s_mov_b32 s4, 0x3f08b237
	s_mov_b32 s18, 0x3d64c772
	s_mov_b32 s5, 0xbeae86e6
	s_mov_b32 s19, 0x3f4a47b2
	s_mov_b32 s12, s5
	s_mov_b32 s13, s4
	s_mov_b32 s20, 0xbf955555
	s_mov_b32 s22, s19
	s_mov_b32 s23, s18
	s_mov_b32 s2, 0xbee1c552
	s_barrier
	s_mov_b32 s14, 0xbf5ff5aa
	s_mov_b32 s16, 0x3f3bfb3b
	s_waitcnt vmcnt(2)
	v_pk_mul_f32 v[66:67], v[28:29], v[32:33]
	v_mov_b32_e32 v64, v29
	v_mov_b32_e32 v66, v31
	v_pk_mul_f32 v[68:69], v[30:31], v[54:55]
	s_waitcnt vmcnt(1)
	v_pk_mul_f32 v[70:71], v[46:47], v[14:15] op_sel_hi:[1,0]
	v_pk_mul_f32 v[72:73], v[48:49], v[16:17] op_sel_hi:[1,0]
	s_waitcnt vmcnt(0)
	v_pk_mul_f32 v[74:75], v[50:51], v[22:23] op_sel_hi:[1,0]
	v_pk_mul_f32 v[76:77], v[52:53], v[24:25] op_sel_hi:[1,0]
	;; [unrolled: 1-line block ×4, first 2 shown]
	v_pk_mul_f32 v[64:65], v[64:65], v[32:33]
	v_mov_b32_e32 v68, v67
	v_pk_mul_f32 v[66:67], v[66:67], v[54:55]
	v_pk_fma_f32 v[56:57], v[46:47], v[56:57], v[70:71] op_sel:[0,0,1] op_sel_hi:[1,1,0] neg_lo:[0,0,1] neg_hi:[0,0,1]
	v_pk_fma_f32 v[14:15], v[46:47], v[14:15], v[70:71] op_sel:[0,1,1] op_sel_hi:[1,1,0]
	v_pk_fma_f32 v[46:47], v[48:49], v[58:59], v[72:73] op_sel:[0,0,1] op_sel_hi:[1,1,0] neg_lo:[0,0,1] neg_hi:[0,0,1]
	v_pk_fma_f32 v[16:17], v[48:49], v[16:17], v[72:73] op_sel:[0,1,1] op_sel_hi:[1,1,0]
	;; [unrolled: 2-line block ×4, first 2 shown]
	v_mov_b32_e32 v78, v69
	v_mov_b32_e32 v57, v15
	;; [unrolled: 1-line block ×9, first 2 shown]
	v_pk_fma_f32 v[28:29], v[28:29], v[32:33], v[68:69] neg_lo:[0,0,1] neg_hi:[0,0,1]
	v_pk_fma_f32 v[30:31], v[30:31], v[54:55], v[78:79] neg_lo:[0,0,1] neg_hi:[0,0,1]
	v_pk_add_f32 v[14:15], v[56:57], v[50:51]
	v_pk_add_f32 v[22:23], v[46:47], v[48:49]
	;; [unrolled: 1-line block ×4, first 2 shown]
	v_pk_add_f32 v[24:25], v[46:47], v[48:49] neg_lo:[0,1] neg_hi:[0,1]
	v_mov_b32_e32 v33, v28
	v_mov_b32_e32 v47, v30
	v_mov_b32_e32 v31, v20
	v_mov_b32_e32 v29, v18
	v_mov_b32_e32 v32, v23
	v_mov_b32_e32 v46, v15
	v_pk_add_f32 v[16:17], v[56:57], v[50:51] neg_lo:[0,1] neg_hi:[0,1]
	v_pk_add_f32 v[56:57], v[18:19], v[20:21]
	v_pk_add_f32 v[28:29], v[30:31], v[28:29] neg_lo:[0,1] neg_hi:[0,1]
	v_pk_add_f32 v[30:31], v[32:33], v[46:47]
	v_mov_b32_e32 v49, v17
	v_mov_b32_e32 v50, v24
	v_mov_b32_e32 v52, v16
	v_mov_b32_e32 v55, v25
	v_mov_b32_e32 v58, v23
	v_mov_b32_e32 v20, v56
	v_mov_b32_e32 v48, v28
	v_mov_b32_e32 v51, v29
	v_mov_b32_e32 v53, v29
	v_mov_b32_e32 v54, v28
	v_mov_b32_e32 v59, v31
	v_pk_add_f32 v[32:33], v[48:49], v[50:51] neg_lo:[0,1] neg_hi:[0,1]
	v_pk_add_f32 v[46:47], v[52:53], v[54:55] neg_lo:[0,1] neg_hi:[0,1]
	;; [unrolled: 1-line block ×3, first 2 shown]
	v_mov_b32_e32 v52, v15
	v_mov_b32_e32 v53, v31
	;; [unrolled: 1-line block ×3, first 2 shown]
	v_pk_add_f32 v[30:31], v[30:31], v[56:57]
	v_pk_add_f32 v[28:29], v[28:29], v[24:25]
	v_pk_mul_f32 v[32:33], v[32:33], s[4:5]
	v_pk_add_f32 v[52:53], v[52:53], v[18:19] neg_lo:[0,1] neg_hi:[0,1]
	v_pk_add_f32 v[12:13], v[30:31], v[12:13]
	v_pk_mul_f32 v[48:49], v[48:49], s[18:19]
	v_pk_add_f32 v[28:29], v[28:29], v[16:17]
	v_pk_mul_f32 v[50:51], v[46:47], s[12:13]
	v_pk_mul_f32 v[54:55], v[52:53], s[22:23]
	v_pk_fma_f32 v[30:31], v[30:31], s[20:21], v[12:13] op_sel_hi:[1,0,1]
	v_pk_fma_f32 v[52:53], v[52:53], s[22:23], v[48:49]
	v_pk_fma_f32 v[46:47], v[46:47], s[12:13], v[32:33]
	v_pk_add_f32 v[52:53], v[52:53], v[30:31]
	v_pk_fma_f32 v[46:47], v[28:29], s[2:3], v[46:47] op_sel_hi:[1,0,1]
	v_mov_b32_e32 v18, v23
	v_pk_add_f32 v[56:57], v[52:53], v[46:47]
	v_pk_add_f32 v[46:47], v[52:53], v[46:47] neg_lo:[0,1] neg_hi:[0,1]
	v_mov_b32_e32 v52, v56
	v_mov_b32_e32 v53, v47
	;; [unrolled: 1-line block ×3, first 2 shown]
	ds_write2_b64 v9, v[12:13], v[52:53] offset1:52
	v_pk_add_f32 v[12:13], v[24:25], v[16:17] neg_lo:[0,1] neg_hi:[0,1]
	v_pk_add_f32 v[14:15], v[18:19], v[20:21] neg_lo:[0,1] neg_hi:[0,1]
	v_mov_b32_e32 v16, v54
	v_mov_b32_e32 v17, v49
	v_mov_b32_e32 v18, v50
	v_mov_b32_e32 v19, v33
	v_mov_b32_e32 v49, v55
	v_mov_b32_e32 v33, v51
	v_pk_fma_f32 v[16:17], v[14:15], s[16:17], v[16:17] op_sel_hi:[1,0,1] neg_lo:[1,0,1] neg_hi:[1,0,1]
	v_pk_fma_f32 v[18:19], v[12:13], s[14:15], v[18:19] op_sel_hi:[1,0,1] neg_lo:[1,0,1] neg_hi:[1,0,1]
	;; [unrolled: 1-line block ×4, first 2 shown]
	v_pk_add_f32 v[16:17], v[16:17], v[30:31]
	v_pk_fma_f32 v[18:19], v[28:29], s[2:3], v[18:19] op_sel_hi:[1,0,1]
	v_pk_add_f32 v[14:15], v[14:15], v[30:31]
	v_pk_fma_f32 v[12:13], v[28:29], s[2:3], v[12:13] op_sel_hi:[1,0,1]
	v_pk_add_f32 v[20:21], v[16:17], v[18:19]
	v_pk_add_f32 v[16:17], v[16:17], v[18:19] neg_lo:[0,1] neg_hi:[0,1]
	v_pk_add_f32 v[22:23], v[14:15], v[12:13] neg_lo:[0,1] neg_hi:[0,1]
	v_pk_add_f32 v[12:13], v[14:15], v[12:13]
	v_mov_b32_e32 v18, v20
	v_mov_b32_e32 v19, v17
	;; [unrolled: 1-line block ×4, first 2 shown]
	ds_write2_b64 v9, v[18:19], v[14:15] offset0:104 offset1:156
	v_mov_b32_e32 v13, v23
	v_mov_b32_e32 v17, v21
	v_add_u32_e32 v14, 0x400, v9
	v_mov_b32_e32 v47, v57
	ds_write2_b64 v14, v[12:13], v[16:17] offset0:80 offset1:132
	ds_write_b64 v9, v[46:47] offset:2496
	s_and_saveexec_b64 s[24:25], vcc
	s_cbranch_execz .LBB0_27
; %bb.26:
	s_movk_i32 s3, 0x4ec5
	v_mul_u32_u24_sdwa v9, v26, s3 dst_sel:DWORD dst_unused:UNUSED_PAD src0_sel:WORD_0 src1_sel:DWORD
	v_lshrrev_b32_e32 v9, 20, v9
	v_mul_lo_u16_e32 v9, 52, v9
	v_sub_u16_e32 v9, v26, v9
	v_mul_u32_u24_e32 v12, 6, v9
	v_lshlrev_b32_e32 v24, 3, v12
	global_load_dwordx4 v[12:15], v24, s[8:9] offset:328
	global_load_dwordx4 v[16:19], v24, s[8:9] offset:312
	;; [unrolled: 1-line block ×3, first 2 shown]
	v_mov_b32_e32 v24, v3
	v_mov_b32_e32 v26, v3
	v_mov_b32_e32 v28, v11
	v_mov_b32_e32 v30, v7
	v_mov_b32_e32 v32, v5
	v_lshl_add_u32 v56, v9, 3, 0
	v_add_u32_e32 v57, 0x2000, v56
	s_waitcnt vmcnt(2)
	v_mov_b32_e32 v46, v15
	v_mov_b32_e32 v47, v14
	s_waitcnt vmcnt(1)
	v_pk_mul_f32 v[2:3], v[2:3], v[16:17] op_sel_hi:[0,1]
	s_waitcnt vmcnt(0)
	v_pk_mul_f32 v[10:11], v[10:11], v[22:23] op_sel_hi:[0,1]
	v_pk_mul_f32 v[44:45], v[44:45], v[18:19] op_sel_hi:[0,1]
	;; [unrolled: 1-line block ×3, first 2 shown]
	v_pk_mul_f32 v[14:15], v[6:7], v[14:15]
	v_pk_mul_f32 v[48:49], v[4:5], v[12:13]
	v_pk_mul_f32 v[32:33], v[32:33], v[12:13] op_sel:[0,1] op_sel_hi:[1,0]
	v_pk_mul_f32 v[50:51], v[4:5], v[12:13] op_sel:[0,1] op_sel_hi:[1,0]
	v_pk_mul_f32 v[30:31], v[30:31], v[46:47]
	v_pk_mul_f32 v[52:53], v[6:7], v[46:47]
	v_pk_fma_f32 v[54:55], v[28:29], v[22:23], v[10:11] op_sel:[0,0,1] op_sel_hi:[0,1,0] neg_lo:[0,0,1] neg_hi:[0,0,1]
	v_pk_fma_f32 v[10:11], v[28:29], v[22:23], v[10:11] op_sel:[0,0,1] op_sel_hi:[0,1,0]
	v_pk_fma_f32 v[22:23], v[24:25], v[16:17], v[2:3] op_sel:[0,0,1] op_sel_hi:[1,1,0] neg_lo:[0,0,1] neg_hi:[0,0,1]
	v_pk_fma_f32 v[2:3], v[26:27], v[16:17], v[2:3] op_sel:[0,0,1] op_sel_hi:[0,1,0]
	;; [unrolled: 2-line block ×4, first 2 shown]
	v_mov_b32_e32 v50, v51
	v_mov_b32_e32 v2, v53
	;; [unrolled: 1-line block ×10, first 2 shown]
	v_pk_fma_f32 v[4:5], v[4:5], v[12:13], v[50:51] op_sel:[0,1,0] op_sel_hi:[1,0,1] neg_lo:[1,0,0] neg_hi:[1,0,0]
	v_pk_fma_f32 v[2:3], v[6:7], v[46:47], v[2:3] neg_lo:[1,0,0] neg_hi:[1,0,0]
	v_pk_add_f32 v[6:7], v[22:23], v[54:55]
	v_pk_add_f32 v[8:9], v[20:21], v[16:17]
	v_pk_add_f32 v[12:13], v[20:21], v[16:17] neg_lo:[0,1] neg_hi:[0,1]
	v_pk_add_f32 v[14:15], v[14:15], v[30:31]
	v_pk_add_f32 v[16:17], v[48:49], v[32:33]
	v_mov_b32_e32 v19, v4
	v_mov_b32_e32 v3, v14
	;; [unrolled: 1-line block ×6, first 2 shown]
	v_pk_add_f32 v[10:11], v[22:23], v[54:55] neg_lo:[0,1] neg_hi:[0,1]
	v_pk_add_f32 v[28:29], v[16:17], v[14:15]
	v_pk_add_f32 v[2:3], v[2:3], v[4:5] neg_lo:[0,1] neg_hi:[0,1]
	v_pk_add_f32 v[4:5], v[18:19], v[26:27]
	v_mov_b32_e32 v23, v13
	v_pk_add_f32 v[30:31], v[12:13], v[10:11] neg_lo:[0,1] neg_hi:[0,1]
	v_mov_b32_e32 v22, v2
	v_pk_add_f32 v[18:19], v[2:3], v[12:13]
	v_mov_b32_e32 v24, v2
	v_mov_b32_e32 v2, v12
	v_pk_add_f32 v[12:13], v[4:5], v[28:29]
	v_mov_b32_e32 v4, v7
	v_mov_b32_e32 v29, v17
	;; [unrolled: 1-line block ×4, first 2 shown]
	v_pk_add_f32 v[10:11], v[18:19], v[10:11]
	v_pk_add_f32 v[18:19], v[4:5], v[28:29] neg_lo:[0,1] neg_hi:[0,1]
	v_mov_b32_e32 v29, v15
	v_mov_b32_e32 v4, v9
	;; [unrolled: 1-line block ×3, first 2 shown]
	v_pk_add_f32 v[2:3], v[24:25], v[2:3] neg_lo:[0,1] neg_hi:[0,1]
	v_pk_add_f32 v[4:5], v[28:29], v[4:5] neg_lo:[0,1] neg_hi:[0,1]
	;; [unrolled: 1-line block ×3, first 2 shown]
	v_pk_add_f32 v[0:1], v[0:1], v[12:13]
	v_pk_mul_f32 v[2:3], v[2:3], s[4:5]
	v_pk_mul_f32 v[4:5], v[4:5], s[18:19]
	;; [unrolled: 1-line block ×4, first 2 shown]
	v_pk_fma_f32 v[12:13], v[12:13], s[20:21], v[0:1] op_sel_hi:[1,0,1]
	v_pk_fma_f32 v[20:21], v[20:21], s[12:13], v[2:3]
	v_pk_fma_f32 v[18:19], v[18:19], s[22:23], v[4:5]
	v_pk_fma_f32 v[20:21], v[10:11], s[2:3], v[20:21] op_sel_hi:[1,0,1]
	v_pk_add_f32 v[18:19], v[18:19], v[12:13]
	v_mov_b32_e32 v16, v9
	v_pk_add_f32 v[28:29], v[18:19], v[20:21]
	v_pk_add_f32 v[18:19], v[18:19], v[20:21] neg_lo:[0,1] neg_hi:[0,1]
	v_mov_b32_e32 v20, v28
	v_mov_b32_e32 v21, v19
	;; [unrolled: 1-line block ×5, first 2 shown]
	ds_write2_b64 v57, v[0:1], v[20:21] offset0:68 offset1:120
	v_pk_add_f32 v[0:1], v[16:17], v[14:15] neg_lo:[0,1] neg_hi:[0,1]
	v_mov_b32_e32 v6, v24
	v_mov_b32_e32 v7, v5
	;; [unrolled: 1-line block ×4, first 2 shown]
	v_pk_fma_f32 v[26:27], v[30:31], s[14:15], v[26:27] op_sel_hi:[1,0,1] neg_lo:[1,0,1] neg_hi:[1,0,1]
	v_pk_fma_f32 v[6:7], v[0:1], s[16:17], v[6:7] op_sel_hi:[1,0,1] neg_lo:[1,0,1] neg_hi:[1,0,1]
	;; [unrolled: 1-line block ×4, first 2 shown]
	v_pk_fma_f32 v[26:27], v[10:11], s[2:3], v[26:27] op_sel_hi:[1,0,1]
	v_pk_add_f32 v[6:7], v[6:7], v[12:13]
	v_pk_fma_f32 v[2:3], v[10:11], s[2:3], v[2:3] op_sel_hi:[1,0,1]
	v_pk_add_f32 v[0:1], v[0:1], v[12:13]
	v_pk_add_f32 v[8:9], v[6:7], v[26:27]
	v_pk_add_f32 v[6:7], v[6:7], v[26:27] neg_lo:[0,1] neg_hi:[0,1]
	v_pk_add_f32 v[4:5], v[0:1], v[2:3] neg_lo:[0,1] neg_hi:[0,1]
	v_pk_add_f32 v[0:1], v[0:1], v[2:3]
	v_mov_b32_e32 v14, v8
	v_mov_b32_e32 v15, v7
	v_mov_b32_e32 v2, v4
	v_mov_b32_e32 v3, v1
	ds_write2_b64 v57, v[14:15], v[2:3] offset0:172 offset1:224
	v_mov_b32_e32 v1, v5
	v_mov_b32_e32 v7, v9
	v_add_u32_e32 v2, 0x2800, v56
	v_mov_b32_e32 v19, v29
	ds_write2_b64 v2, v[0:1], v[6:7] offset0:20 offset1:72
	ds_write_b64 v56, v[18:19] offset:11232
.LBB0_27:
	s_or_b64 exec, exec, s[24:25]
	v_lshl_add_u64 v[18:19], v[38:39], 3, s[8:9]
	s_movk_i32 s2, 0x1000
	v_lshl_add_u64 v[16:17], v[40:41], 3, s[8:9]
	v_add_co_u32_e32 v22, vcc, s2, v18
	s_waitcnt lgkmcnt(0)
	s_barrier
	global_load_dwordx2 v[20:21], v[16:17], off offset:2808
	v_addc_co_u32_e32 v23, vcc, 0, v19, vcc
	global_load_dwordx2 v[24:25], v[22:23], off offset:168
	v_add_u32_e32 v39, 0x1600, v188
	ds_read2_b64 v[0:3], v188 offset1:182
	v_add_u32_e32 v40, 0xa00, v188
	v_add_u32_e32 v41, 0x2000, v188
	ds_read2_b64 v[4:7], v39 offset0:24 offset1:206
	ds_read2_b64 v[8:11], v40 offset0:44 offset1:226
	;; [unrolled: 1-line block ×3, first 2 shown]
	v_add_co_u32_e32 v16, vcc, s2, v16
	s_movk_i32 s3, 0x2000
	s_nop 0
	v_addc_co_u32_e32 v17, vcc, 0, v17, vcc
	v_add_co_u32_e32 v18, vcc, s3, v18
	s_waitcnt lgkmcnt(0)
	s_nop 0
	v_addc_co_u32_e32 v19, vcc, 0, v19, vcc
	s_barrier
	s_waitcnt vmcnt(1)
	v_pk_mul_f32 v[26:27], v[20:21], v[4:5] op_sel:[0,1]
	v_pk_mul_f32 v[28:29], v[20:21], v[12:13] op_sel:[0,1]
	v_pk_fma_f32 v[30:31], v[20:21], v[4:5], v[26:27] op_sel:[0,0,1] op_sel_hi:[1,1,0]
	v_pk_fma_f32 v[4:5], v[20:21], v[4:5], v[26:27] op_sel:[0,0,1] op_sel_hi:[1,0,0] neg_lo:[1,0,0] neg_hi:[1,0,0]
	s_waitcnt vmcnt(0)
	v_pk_mul_f32 v[26:27], v[24:25], v[6:7] op_sel:[0,1]
	v_pk_fma_f32 v[32:33], v[20:21], v[12:13], v[28:29] op_sel:[0,0,1] op_sel_hi:[1,1,0]
	v_pk_fma_f32 v[12:13], v[20:21], v[12:13], v[28:29] op_sel:[0,0,1] op_sel_hi:[1,0,0] neg_lo:[1,0,0] neg_hi:[1,0,0]
	v_pk_mul_f32 v[20:21], v[24:25], v[14:15] op_sel:[0,1]
	v_mov_b32_e32 v31, v5
	v_pk_fma_f32 v[4:5], v[24:25], v[6:7], v[26:27] op_sel:[0,0,1] op_sel_hi:[1,1,0]
	v_pk_fma_f32 v[6:7], v[24:25], v[6:7], v[26:27] op_sel:[0,0,1] op_sel_hi:[1,0,0] neg_lo:[1,0,0] neg_hi:[1,0,0]
	v_mov_b32_e32 v33, v13
	v_pk_fma_f32 v[12:13], v[24:25], v[14:15], v[20:21] op_sel:[0,0,1] op_sel_hi:[1,1,0]
	v_pk_fma_f32 v[14:15], v[24:25], v[14:15], v[20:21] op_sel:[0,0,1] op_sel_hi:[1,0,0] neg_lo:[1,0,0] neg_hi:[1,0,0]
	v_mov_b32_e32 v5, v7
	v_mov_b32_e32 v13, v15
	v_pk_add_f32 v[20:21], v[0:1], v[30:31] neg_lo:[0,1] neg_hi:[0,1]
	v_pk_add_f32 v[6:7], v[8:9], v[32:33] neg_lo:[0,1] neg_hi:[0,1]
	;; [unrolled: 1-line block ×4, first 2 shown]
	v_pk_fma_f32 v[0:1], v[0:1], 2.0, v[20:21] op_sel_hi:[1,0,1] neg_lo:[0,0,1] neg_hi:[0,0,1]
	v_pk_fma_f32 v[8:9], v[8:9], 2.0, v[6:7] op_sel_hi:[1,0,1] neg_lo:[0,0,1] neg_hi:[0,0,1]
	;; [unrolled: 1-line block ×4, first 2 shown]
	ds_write2_b64 v40, v[20:21], v[4:5] offset0:44 offset1:226
	ds_write2_b64 v41, v[6:7], v[12:13] offset0:68 offset1:250
	ds_write2_b64 v188, v[0:1], v[2:3] offset1:182
	ds_write2_b64 v39, v[8:9], v[10:11] offset0:24 offset1:206
	s_waitcnt lgkmcnt(0)
	s_barrier
	global_load_dwordx2 v[20:21], v[18:19], off offset:440
	global_load_dwordx2 v[24:25], v[18:19], off offset:1896
	;; [unrolled: 1-line block ×4, first 2 shown]
	ds_read2_b64 v[0:3], v188 offset1:182
	ds_read2_b64 v[4:7], v39 offset0:24 offset1:206
	ds_read2_b64 v[8:11], v40 offset0:44 offset1:226
	;; [unrolled: 1-line block ×3, first 2 shown]
	s_waitcnt lgkmcnt(0)
	s_barrier
	s_waitcnt vmcnt(3)
	v_pk_mul_f32 v[22:23], v[20:21], v[12:13] op_sel:[0,1]
	s_waitcnt vmcnt(2)
	v_pk_mul_f32 v[30:31], v[24:25], v[14:15] op_sel:[0,1]
	;; [unrolled: 2-line block ×4, first 2 shown]
	v_pk_fma_f32 v[32:33], v[26:27], v[4:5], v[16:17] op_sel:[0,0,1] op_sel_hi:[1,1,0]
	v_pk_fma_f32 v[4:5], v[26:27], v[4:5], v[16:17] op_sel:[0,0,1] op_sel_hi:[1,0,0] neg_lo:[1,0,0] neg_hi:[1,0,0]
	v_pk_fma_f32 v[16:17], v[28:29], v[6:7], v[18:19] op_sel:[0,0,1] op_sel_hi:[1,1,0]
	v_pk_fma_f32 v[6:7], v[28:29], v[6:7], v[18:19] op_sel:[0,0,1] op_sel_hi:[1,0,0] neg_lo:[1,0,0] neg_hi:[1,0,0]
	;; [unrolled: 2-line block ×4, first 2 shown]
	v_mov_b32_e32 v33, v5
	v_mov_b32_e32 v17, v7
	;; [unrolled: 1-line block ×4, first 2 shown]
	v_pk_add_f32 v[4:5], v[0:1], v[32:33] neg_lo:[0,1] neg_hi:[0,1]
	v_pk_add_f32 v[6:7], v[2:3], v[16:17] neg_lo:[0,1] neg_hi:[0,1]
	;; [unrolled: 1-line block ×4, first 2 shown]
	v_pk_fma_f32 v[0:1], v[0:1], 2.0, v[4:5] op_sel_hi:[1,0,1] neg_lo:[0,0,1] neg_hi:[0,0,1]
	v_pk_fma_f32 v[2:3], v[2:3], 2.0, v[6:7] op_sel_hi:[1,0,1] neg_lo:[0,0,1] neg_hi:[0,0,1]
	;; [unrolled: 1-line block ×4, first 2 shown]
	ds_write2_b64 v39, v[4:5], v[6:7] offset0:24 offset1:206
	ds_write2_b64 v41, v[12:13], v[14:15] offset0:68 offset1:250
	ds_write2_b64 v188, v[0:1], v[2:3] offset1:182
	ds_write2_b64 v40, v[8:9], v[10:11] offset0:44 offset1:226
	s_waitcnt lgkmcnt(0)
	s_barrier
	s_and_saveexec_b64 s[2:3], s[0:1]
	s_cbranch_execz .LBB0_29
; %bb.28:
	v_mul_lo_u32 v0, s11, v36
	v_mul_lo_u32 v1, s10, v37
	v_mad_u64_u32 v[4:5], s[0:1], s10, v36, 0
	v_lshl_add_u32 v10, v38, 3, 0
	v_add3_u32 v5, v5, v1, v0
	ds_read2_b64 v[0:3], v10 offset1:182
	v_lshl_add_u64 v[4:5], v[4:5], 3, s[6:7]
	v_mov_b32_e32 v39, 0
	v_lshl_add_u64 v[8:9], v[34:35], 3, v[4:5]
	v_lshl_add_u64 v[4:5], v[38:39], 3, v[8:9]
	s_waitcnt lgkmcnt(0)
	global_store_dwordx2 v[4:5], v[0:1], off
	v_add_u32_e32 v4, 0xa00, v10
	ds_read2_b64 v[4:7], v4 offset0:44 offset1:226
	v_add_u32_e32 v0, 0xb6, v38
	v_mov_b32_e32 v1, v39
	v_lshl_add_u64 v[0:1], v[0:1], 3, v[8:9]
	global_store_dwordx2 v[0:1], v[2:3], off
	v_add_u32_e32 v0, 0x16c, v38
	v_mov_b32_e32 v1, v39
	v_lshl_add_u64 v[0:1], v[0:1], 3, v[8:9]
	s_waitcnt lgkmcnt(0)
	global_store_dwordx2 v[0:1], v[4:5], off
	v_add_u32_e32 v0, 0x222, v38
	v_mov_b32_e32 v1, v39
	v_lshl_add_u64 v[4:5], v[0:1], 3, v[8:9]
	v_add_u32_e32 v0, 0x1600, v10
	ds_read2_b64 v[0:3], v0 offset0:24 offset1:206
	global_store_dwordx2 v[4:5], v[6:7], off
	v_add_u32_e32 v4, 0x2d8, v38
	v_mov_b32_e32 v5, v39
	v_lshl_add_u64 v[4:5], v[4:5], 3, v[8:9]
	s_waitcnt lgkmcnt(0)
	global_store_dwordx2 v[4:5], v[0:1], off
	v_add_u32_e32 v4, 0x2000, v10
	ds_read2_b64 v[4:7], v4 offset0:68 offset1:250
	v_add_u32_e32 v0, 0x38e, v38
	v_mov_b32_e32 v1, v39
	v_lshl_add_u64 v[0:1], v[0:1], 3, v[8:9]
	global_store_dwordx2 v[0:1], v[2:3], off
	v_add_u32_e32 v0, 0x444, v38
	v_mov_b32_e32 v1, v39
	v_lshl_add_u64 v[0:1], v[0:1], 3, v[8:9]
	v_add_u32_e32 v38, 0x4fa, v38
	s_waitcnt lgkmcnt(0)
	global_store_dwordx2 v[0:1], v[4:5], off
	v_lshl_add_u64 v[0:1], v[38:39], 3, v[8:9]
	global_store_dwordx2 v[0:1], v[6:7], off
.LBB0_29:
	s_endpgm
	.section	.rodata,"a",@progbits
	.p2align	6, 0x0
	.amdhsa_kernel fft_rtc_back_len1456_factors_13_4_7_2_2_wgs_182_tpt_182_halfLds_sp_op_CI_CI_unitstride_sbrr_C2R_dirReg
		.amdhsa_group_segment_fixed_size 0
		.amdhsa_private_segment_fixed_size 0
		.amdhsa_kernarg_size 104
		.amdhsa_user_sgpr_count 2
		.amdhsa_user_sgpr_dispatch_ptr 0
		.amdhsa_user_sgpr_queue_ptr 0
		.amdhsa_user_sgpr_kernarg_segment_ptr 1
		.amdhsa_user_sgpr_dispatch_id 0
		.amdhsa_user_sgpr_kernarg_preload_length 0
		.amdhsa_user_sgpr_kernarg_preload_offset 0
		.amdhsa_user_sgpr_private_segment_size 0
		.amdhsa_uses_dynamic_stack 0
		.amdhsa_enable_private_segment 0
		.amdhsa_system_sgpr_workgroup_id_x 1
		.amdhsa_system_sgpr_workgroup_id_y 0
		.amdhsa_system_sgpr_workgroup_id_z 0
		.amdhsa_system_sgpr_workgroup_info 0
		.amdhsa_system_vgpr_workitem_id 0
		.amdhsa_next_free_vgpr 234
		.amdhsa_next_free_sgpr 64
		.amdhsa_accum_offset 236
		.amdhsa_reserve_vcc 1
		.amdhsa_float_round_mode_32 0
		.amdhsa_float_round_mode_16_64 0
		.amdhsa_float_denorm_mode_32 3
		.amdhsa_float_denorm_mode_16_64 3
		.amdhsa_dx10_clamp 1
		.amdhsa_ieee_mode 1
		.amdhsa_fp16_overflow 0
		.amdhsa_tg_split 0
		.amdhsa_exception_fp_ieee_invalid_op 0
		.amdhsa_exception_fp_denorm_src 0
		.amdhsa_exception_fp_ieee_div_zero 0
		.amdhsa_exception_fp_ieee_overflow 0
		.amdhsa_exception_fp_ieee_underflow 0
		.amdhsa_exception_fp_ieee_inexact 0
		.amdhsa_exception_int_div_zero 0
	.end_amdhsa_kernel
	.text
.Lfunc_end0:
	.size	fft_rtc_back_len1456_factors_13_4_7_2_2_wgs_182_tpt_182_halfLds_sp_op_CI_CI_unitstride_sbrr_C2R_dirReg, .Lfunc_end0-fft_rtc_back_len1456_factors_13_4_7_2_2_wgs_182_tpt_182_halfLds_sp_op_CI_CI_unitstride_sbrr_C2R_dirReg
                                        ; -- End function
	.section	.AMDGPU.csdata,"",@progbits
; Kernel info:
; codeLenInByte = 9188
; NumSgprs: 70
; NumVgprs: 234
; NumAgprs: 0
; TotalNumVgprs: 234
; ScratchSize: 0
; MemoryBound: 0
; FloatMode: 240
; IeeeMode: 1
; LDSByteSize: 0 bytes/workgroup (compile time only)
; SGPRBlocks: 8
; VGPRBlocks: 29
; NumSGPRsForWavesPerEU: 70
; NumVGPRsForWavesPerEU: 234
; AccumOffset: 236
; Occupancy: 2
; WaveLimiterHint : 1
; COMPUTE_PGM_RSRC2:SCRATCH_EN: 0
; COMPUTE_PGM_RSRC2:USER_SGPR: 2
; COMPUTE_PGM_RSRC2:TRAP_HANDLER: 0
; COMPUTE_PGM_RSRC2:TGID_X_EN: 1
; COMPUTE_PGM_RSRC2:TGID_Y_EN: 0
; COMPUTE_PGM_RSRC2:TGID_Z_EN: 0
; COMPUTE_PGM_RSRC2:TIDIG_COMP_CNT: 0
; COMPUTE_PGM_RSRC3_GFX90A:ACCUM_OFFSET: 58
; COMPUTE_PGM_RSRC3_GFX90A:TG_SPLIT: 0
	.text
	.p2alignl 6, 3212836864
	.fill 256, 4, 3212836864
	.type	__hip_cuid_2178cc2b2bae5f25,@object ; @__hip_cuid_2178cc2b2bae5f25
	.section	.bss,"aw",@nobits
	.globl	__hip_cuid_2178cc2b2bae5f25
__hip_cuid_2178cc2b2bae5f25:
	.byte	0                               ; 0x0
	.size	__hip_cuid_2178cc2b2bae5f25, 1

	.ident	"AMD clang version 19.0.0git (https://github.com/RadeonOpenCompute/llvm-project roc-6.4.0 25133 c7fe45cf4b819c5991fe208aaa96edf142730f1d)"
	.section	".note.GNU-stack","",@progbits
	.addrsig
	.addrsig_sym __hip_cuid_2178cc2b2bae5f25
	.amdgpu_metadata
---
amdhsa.kernels:
  - .agpr_count:     0
    .args:
      - .actual_access:  read_only
        .address_space:  global
        .offset:         0
        .size:           8
        .value_kind:     global_buffer
      - .offset:         8
        .size:           8
        .value_kind:     by_value
      - .actual_access:  read_only
        .address_space:  global
        .offset:         16
        .size:           8
        .value_kind:     global_buffer
      - .actual_access:  read_only
        .address_space:  global
        .offset:         24
        .size:           8
        .value_kind:     global_buffer
      - .actual_access:  read_only
        .address_space:  global
        .offset:         32
        .size:           8
        .value_kind:     global_buffer
      - .offset:         40
        .size:           8
        .value_kind:     by_value
      - .actual_access:  read_only
        .address_space:  global
        .offset:         48
        .size:           8
        .value_kind:     global_buffer
      - .actual_access:  read_only
        .address_space:  global
        .offset:         56
        .size:           8
        .value_kind:     global_buffer
      - .offset:         64
        .size:           4
        .value_kind:     by_value
      - .actual_access:  read_only
        .address_space:  global
        .offset:         72
        .size:           8
        .value_kind:     global_buffer
      - .actual_access:  read_only
        .address_space:  global
        .offset:         80
        .size:           8
        .value_kind:     global_buffer
      - .actual_access:  read_only
        .address_space:  global
        .offset:         88
        .size:           8
        .value_kind:     global_buffer
      - .actual_access:  write_only
        .address_space:  global
        .offset:         96
        .size:           8
        .value_kind:     global_buffer
    .group_segment_fixed_size: 0
    .kernarg_segment_align: 8
    .kernarg_segment_size: 104
    .language:       OpenCL C
    .language_version:
      - 2
      - 0
    .max_flat_workgroup_size: 182
    .name:           fft_rtc_back_len1456_factors_13_4_7_2_2_wgs_182_tpt_182_halfLds_sp_op_CI_CI_unitstride_sbrr_C2R_dirReg
    .private_segment_fixed_size: 0
    .sgpr_count:     70
    .sgpr_spill_count: 0
    .symbol:         fft_rtc_back_len1456_factors_13_4_7_2_2_wgs_182_tpt_182_halfLds_sp_op_CI_CI_unitstride_sbrr_C2R_dirReg.kd
    .uniform_work_group_size: 1
    .uses_dynamic_stack: false
    .vgpr_count:     234
    .vgpr_spill_count: 0
    .wavefront_size: 64
amdhsa.target:   amdgcn-amd-amdhsa--gfx950
amdhsa.version:
  - 1
  - 2
...

	.end_amdgpu_metadata
